;; amdgpu-corpus repo=ROCm/rocFFT kind=compiled arch=gfx1030 opt=O3
	.text
	.amdgcn_target "amdgcn-amd-amdhsa--gfx1030"
	.amdhsa_code_object_version 6
	.protected	fft_rtc_back_len204_factors_17_4_3_wgs_119_tpt_17_halfLds_dp_op_CI_CI_unitstride_sbrr_C2R_dirReg ; -- Begin function fft_rtc_back_len204_factors_17_4_3_wgs_119_tpt_17_halfLds_dp_op_CI_CI_unitstride_sbrr_C2R_dirReg
	.globl	fft_rtc_back_len204_factors_17_4_3_wgs_119_tpt_17_halfLds_dp_op_CI_CI_unitstride_sbrr_C2R_dirReg
	.p2align	8
	.type	fft_rtc_back_len204_factors_17_4_3_wgs_119_tpt_17_halfLds_dp_op_CI_CI_unitstride_sbrr_C2R_dirReg,@function
fft_rtc_back_len204_factors_17_4_3_wgs_119_tpt_17_halfLds_dp_op_CI_CI_unitstride_sbrr_C2R_dirReg: ; @fft_rtc_back_len204_factors_17_4_3_wgs_119_tpt_17_halfLds_dp_op_CI_CI_unitstride_sbrr_C2R_dirReg
; %bb.0:
	s_load_dwordx4 s[12:15], s[4:5], 0x0
	v_mul_u32_u24_e32 v1, 0xf10, v0
	s_clause 0x1
	s_load_dwordx4 s[8:11], s[4:5], 0x58
	s_load_dwordx4 s[16:19], s[4:5], 0x18
	v_mov_b32_e32 v5, 0
	v_lshrrev_b32_e32 v3, 16, v1
	v_mov_b32_e32 v1, 0
	v_mov_b32_e32 v2, 0
	v_mad_u64_u32 v[3:4], null, s6, 7, v[3:4]
	v_mov_b32_e32 v4, v5
	v_mov_b32_e32 v69, v2
	;; [unrolled: 1-line block ×5, first 2 shown]
	s_waitcnt lgkmcnt(0)
	v_cmp_lt_u64_e64 s0, s[14:15], 2
	s_and_b32 vcc_lo, exec_lo, s0
	s_cbranch_vccnz .LBB0_8
; %bb.1:
	s_load_dwordx2 s[0:1], s[4:5], 0x10
	v_mov_b32_e32 v1, 0
	v_mov_b32_e32 v2, 0
	s_add_u32 s2, s18, 8
	v_mov_b32_e32 v8, v4
	s_addc_u32 s3, s19, 0
	v_mov_b32_e32 v7, v3
	v_mov_b32_e32 v69, v2
	s_add_u32 s6, s16, 8
	v_mov_b32_e32 v68, v1
	s_addc_u32 s7, s17, 0
	s_mov_b64 s[22:23], 1
	s_waitcnt lgkmcnt(0)
	s_add_u32 s20, s0, 8
	s_addc_u32 s21, s1, 0
.LBB0_2:                                ; =>This Inner Loop Header: Depth=1
	s_load_dwordx2 s[24:25], s[20:21], 0x0
                                        ; implicit-def: $vgpr72_vgpr73
	s_mov_b32 s0, exec_lo
	s_waitcnt lgkmcnt(0)
	v_or_b32_e32 v6, s25, v8
	v_cmpx_ne_u64_e32 0, v[5:6]
	s_xor_b32 s1, exec_lo, s0
	s_cbranch_execz .LBB0_4
; %bb.3:                                ;   in Loop: Header=BB0_2 Depth=1
	v_cvt_f32_u32_e32 v4, s24
	v_cvt_f32_u32_e32 v6, s25
	s_sub_u32 s0, 0, s24
	s_subb_u32 s26, 0, s25
	v_fmac_f32_e32 v4, 0x4f800000, v6
	v_rcp_f32_e32 v4, v4
	v_mul_f32_e32 v4, 0x5f7ffffc, v4
	v_mul_f32_e32 v6, 0x2f800000, v4
	v_trunc_f32_e32 v6, v6
	v_fmac_f32_e32 v4, 0xcf800000, v6
	v_cvt_u32_f32_e32 v6, v6
	v_cvt_u32_f32_e32 v4, v4
	v_mul_lo_u32 v9, s0, v6
	v_mul_hi_u32 v10, s0, v4
	v_mul_lo_u32 v11, s26, v4
	v_add_nc_u32_e32 v9, v10, v9
	v_mul_lo_u32 v10, s0, v4
	v_add_nc_u32_e32 v9, v9, v11
	v_mul_hi_u32 v11, v4, v10
	v_mul_lo_u32 v12, v4, v9
	v_mul_hi_u32 v13, v4, v9
	v_mul_hi_u32 v14, v6, v10
	v_mul_lo_u32 v10, v6, v10
	v_mul_hi_u32 v15, v6, v9
	v_mul_lo_u32 v9, v6, v9
	v_add_co_u32 v11, vcc_lo, v11, v12
	v_add_co_ci_u32_e32 v12, vcc_lo, 0, v13, vcc_lo
	v_add_co_u32 v10, vcc_lo, v11, v10
	v_add_co_ci_u32_e32 v10, vcc_lo, v12, v14, vcc_lo
	v_add_co_ci_u32_e32 v11, vcc_lo, 0, v15, vcc_lo
	v_add_co_u32 v9, vcc_lo, v10, v9
	v_add_co_ci_u32_e32 v10, vcc_lo, 0, v11, vcc_lo
	v_add_co_u32 v4, vcc_lo, v4, v9
	v_add_co_ci_u32_e32 v6, vcc_lo, v6, v10, vcc_lo
	v_mul_hi_u32 v9, s0, v4
	v_mul_lo_u32 v11, s26, v4
	v_mul_lo_u32 v10, s0, v6
	v_add_nc_u32_e32 v9, v9, v10
	v_mul_lo_u32 v10, s0, v4
	v_add_nc_u32_e32 v9, v9, v11
	v_mul_hi_u32 v11, v4, v10
	v_mul_lo_u32 v12, v4, v9
	v_mul_hi_u32 v13, v4, v9
	v_mul_hi_u32 v14, v6, v10
	v_mul_lo_u32 v10, v6, v10
	v_mul_hi_u32 v15, v6, v9
	v_mul_lo_u32 v9, v6, v9
	v_add_co_u32 v11, vcc_lo, v11, v12
	v_add_co_ci_u32_e32 v12, vcc_lo, 0, v13, vcc_lo
	v_add_co_u32 v10, vcc_lo, v11, v10
	v_add_co_ci_u32_e32 v10, vcc_lo, v12, v14, vcc_lo
	v_add_co_ci_u32_e32 v11, vcc_lo, 0, v15, vcc_lo
	v_add_co_u32 v9, vcc_lo, v10, v9
	v_add_co_ci_u32_e32 v10, vcc_lo, 0, v11, vcc_lo
	v_add_co_u32 v4, vcc_lo, v4, v9
	v_add_co_ci_u32_e32 v6, vcc_lo, v6, v10, vcc_lo
	v_mul_hi_u32 v15, v7, v4
	v_mad_u64_u32 v[11:12], null, v8, v4, 0
	v_mad_u64_u32 v[9:10], null, v7, v6, 0
	;; [unrolled: 1-line block ×3, first 2 shown]
	v_add_co_u32 v4, vcc_lo, v15, v9
	v_add_co_ci_u32_e32 v6, vcc_lo, 0, v10, vcc_lo
	v_add_co_u32 v4, vcc_lo, v4, v11
	v_add_co_ci_u32_e32 v4, vcc_lo, v6, v12, vcc_lo
	v_add_co_ci_u32_e32 v6, vcc_lo, 0, v14, vcc_lo
	v_add_co_u32 v4, vcc_lo, v4, v13
	v_add_co_ci_u32_e32 v6, vcc_lo, 0, v6, vcc_lo
	v_mul_lo_u32 v11, s25, v4
	v_mad_u64_u32 v[9:10], null, s24, v4, 0
	v_mul_lo_u32 v12, s24, v6
	v_sub_co_u32 v9, vcc_lo, v7, v9
	v_add3_u32 v10, v10, v12, v11
	v_sub_nc_u32_e32 v11, v8, v10
	v_subrev_co_ci_u32_e64 v11, s0, s25, v11, vcc_lo
	v_add_co_u32 v12, s0, v4, 2
	v_add_co_ci_u32_e64 v13, s0, 0, v6, s0
	v_sub_co_u32 v14, s0, v9, s24
	v_sub_co_ci_u32_e32 v10, vcc_lo, v8, v10, vcc_lo
	v_subrev_co_ci_u32_e64 v11, s0, 0, v11, s0
	v_cmp_le_u32_e32 vcc_lo, s24, v14
	v_cmp_eq_u32_e64 s0, s25, v10
	v_cndmask_b32_e64 v14, 0, -1, vcc_lo
	v_cmp_le_u32_e32 vcc_lo, s25, v11
	v_cndmask_b32_e64 v15, 0, -1, vcc_lo
	v_cmp_le_u32_e32 vcc_lo, s24, v9
	;; [unrolled: 2-line block ×3, first 2 shown]
	v_cndmask_b32_e64 v16, 0, -1, vcc_lo
	v_cmp_eq_u32_e32 vcc_lo, s25, v11
	v_cndmask_b32_e64 v9, v16, v9, s0
	v_cndmask_b32_e32 v11, v15, v14, vcc_lo
	v_add_co_u32 v14, vcc_lo, v4, 1
	v_add_co_ci_u32_e32 v15, vcc_lo, 0, v6, vcc_lo
	v_cmp_ne_u32_e32 vcc_lo, 0, v11
	v_cndmask_b32_e32 v10, v15, v13, vcc_lo
	v_cndmask_b32_e32 v11, v14, v12, vcc_lo
	v_cmp_ne_u32_e32 vcc_lo, 0, v9
	v_cndmask_b32_e32 v73, v6, v10, vcc_lo
	v_cndmask_b32_e32 v72, v4, v11, vcc_lo
.LBB0_4:                                ;   in Loop: Header=BB0_2 Depth=1
	s_andn2_saveexec_b32 s0, s1
	s_cbranch_execz .LBB0_6
; %bb.5:                                ;   in Loop: Header=BB0_2 Depth=1
	v_cvt_f32_u32_e32 v4, s24
	s_sub_i32 s1, 0, s24
	v_mov_b32_e32 v73, v5
	v_rcp_iflag_f32_e32 v4, v4
	v_mul_f32_e32 v4, 0x4f7ffffe, v4
	v_cvt_u32_f32_e32 v4, v4
	v_mul_lo_u32 v6, s1, v4
	v_mul_hi_u32 v6, v4, v6
	v_add_nc_u32_e32 v4, v4, v6
	v_mul_hi_u32 v4, v7, v4
	v_mul_lo_u32 v6, v4, s24
	v_add_nc_u32_e32 v9, 1, v4
	v_sub_nc_u32_e32 v6, v7, v6
	v_subrev_nc_u32_e32 v10, s24, v6
	v_cmp_le_u32_e32 vcc_lo, s24, v6
	v_cndmask_b32_e32 v6, v6, v10, vcc_lo
	v_cndmask_b32_e32 v4, v4, v9, vcc_lo
	v_cmp_le_u32_e32 vcc_lo, s24, v6
	v_add_nc_u32_e32 v9, 1, v4
	v_cndmask_b32_e32 v72, v4, v9, vcc_lo
.LBB0_6:                                ;   in Loop: Header=BB0_2 Depth=1
	s_or_b32 exec_lo, exec_lo, s0
	v_mul_lo_u32 v4, v73, s24
	v_mul_lo_u32 v6, v72, s25
	s_load_dwordx2 s[0:1], s[6:7], 0x0
	v_mad_u64_u32 v[9:10], null, v72, s24, 0
	s_load_dwordx2 s[24:25], s[2:3], 0x0
	s_add_u32 s22, s22, 1
	s_addc_u32 s23, s23, 0
	s_add_u32 s2, s2, 8
	s_addc_u32 s3, s3, 0
	s_add_u32 s6, s6, 8
	v_add3_u32 v4, v10, v6, v4
	v_sub_co_u32 v6, vcc_lo, v7, v9
	s_addc_u32 s7, s7, 0
	s_add_u32 s20, s20, 8
	v_sub_co_ci_u32_e32 v4, vcc_lo, v8, v4, vcc_lo
	s_addc_u32 s21, s21, 0
	s_waitcnt lgkmcnt(0)
	v_mul_lo_u32 v7, s0, v4
	v_mul_lo_u32 v8, s1, v6
	v_mad_u64_u32 v[1:2], null, s0, v6, v[1:2]
	v_mul_lo_u32 v4, s24, v4
	v_mul_lo_u32 v9, s25, v6
	v_mad_u64_u32 v[68:69], null, s24, v6, v[68:69]
	v_cmp_ge_u64_e64 s0, s[22:23], s[14:15]
	v_add3_u32 v2, v8, v2, v7
	v_add3_u32 v69, v9, v69, v4
	s_and_b32 vcc_lo, exec_lo, s0
	s_cbranch_vccnz .LBB0_8
; %bb.7:                                ;   in Loop: Header=BB0_2 Depth=1
	v_mov_b32_e32 v7, v72
	v_mov_b32_e32 v8, v73
	s_branch .LBB0_2
.LBB0_8:
	v_mul_hi_u32 v4, 0x24924925, v3
	s_load_dwordx2 s[0:1], s[4:5], 0x28
	s_lshl_b64 s[4:5], s[14:15], 3
                                        ; implicit-def: $vgpr70
	s_add_u32 s2, s18, s4
	s_addc_u32 s3, s19, s5
	v_sub_nc_u32_e32 v5, v3, v4
	v_lshrrev_b32_e32 v5, 1, v5
	v_add_nc_u32_e32 v4, v5, v4
	s_waitcnt lgkmcnt(0)
	v_cmp_gt_u64_e32 vcc_lo, s[0:1], v[72:73]
	v_cmp_le_u64_e64 s0, s[0:1], v[72:73]
	v_lshrrev_b32_e32 v4, 2, v4
	v_mul_lo_u32 v5, v4, 7
	v_mul_hi_u32 v4, 0xf0f0f10, v0
	v_sub_nc_u32_e32 v3, v3, v5
	s_and_saveexec_b32 s1, s0
	s_xor_b32 s0, exec_lo, s1
; %bb.9:
	v_mul_u32_u24_e32 v1, 17, v4
                                        ; implicit-def: $vgpr4
	v_sub_nc_u32_e32 v70, v0, v1
                                        ; implicit-def: $vgpr0
                                        ; implicit-def: $vgpr1_vgpr2
; %bb.10:
	s_or_saveexec_b32 s1, s0
	s_load_dwordx2 s[2:3], s[2:3], 0x0
	v_mul_u32_u24_e32 v10, 0xcd, v3
	v_lshlrev_b32_e32 v106, 4, v10
	s_xor_b32 exec_lo, exec_lo, s1
	s_cbranch_execz .LBB0_14
; %bb.11:
	s_add_u32 s4, s16, s4
	s_addc_u32 s5, s17, s5
	v_lshlrev_b64 v[1:2], 4, v[1:2]
	s_load_dwordx2 s[4:5], s[4:5], 0x0
	s_waitcnt lgkmcnt(0)
	v_mul_lo_u32 v3, s5, v72
	v_mul_lo_u32 v7, s4, v73
	v_mad_u64_u32 v[5:6], null, s4, v72, 0
	s_mov_b32 s4, exec_lo
	v_add3_u32 v6, v6, v7, v3
	v_mul_u32_u24_e32 v7, 17, v4
	v_lshlrev_b64 v[3:4], 4, v[5:6]
	v_sub_nc_u32_e32 v70, v0, v7
	v_lshlrev_b32_e32 v9, 4, v70
	v_add_co_u32 v0, s0, s8, v3
	v_add_co_ci_u32_e64 v3, s0, s9, v4, s0
	v_add_co_u32 v0, s0, v0, v1
	v_add_co_ci_u32_e64 v1, s0, v3, v2, s0
	v_add3_u32 v2, 0, v106, v9
	v_add_co_u32 v7, s0, v0, v9
	v_add_co_ci_u32_e64 v8, s0, 0, v1, s0
	s_clause 0x3
	global_load_dwordx4 v[3:6], v[7:8], off
	global_load_dwordx4 v[11:14], v[7:8], off offset:272
	global_load_dwordx4 v[15:18], v[7:8], off offset:544
	global_load_dwordx4 v[19:22], v[7:8], off offset:816
	v_add_co_u32 v51, s0, 0x800, v7
	v_add_co_ci_u32_e64 v52, s0, 0, v8, s0
	s_clause 0x7
	global_load_dwordx4 v[23:26], v[7:8], off offset:1088
	global_load_dwordx4 v[27:30], v[7:8], off offset:1360
	;; [unrolled: 1-line block ×8, first 2 shown]
	s_waitcnt vmcnt(11)
	ds_write_b128 v2, v[3:6]
	s_waitcnt vmcnt(10)
	ds_write_b128 v2, v[11:14] offset:272
	s_waitcnt vmcnt(9)
	ds_write_b128 v2, v[15:18] offset:544
	;; [unrolled: 2-line block ×11, first 2 shown]
	v_cmpx_eq_u32_e32 16, v70
	s_cbranch_execz .LBB0_13
; %bb.12:
	v_add_co_u32 v0, s0, 0x800, v0
	v_add_co_ci_u32_e64 v1, s0, 0, v1, s0
	v_mov_b32_e32 v70, 16
	global_load_dwordx4 v[3:6], v[0:1], off offset:1216
	s_waitcnt vmcnt(0)
	ds_write_b128 v2, v[3:6] offset:3008
.LBB0_13:
	s_or_b32 exec_lo, exec_lo, s4
.LBB0_14:
	s_or_b32 exec_lo, exec_lo, s1
	v_lshl_add_u32 v107, v10, 4, 0
	v_lshlrev_b32_e32 v0, 4, v70
	s_waitcnt lgkmcnt(0)
	s_barrier
	buffer_gl0_inv
	s_add_u32 s1, s12, 0xbb0
	v_add_nc_u32_e32 v108, v107, v0
	v_sub_nc_u32_e32 v11, v107, v0
	s_addc_u32 s4, s13, 0
	s_mov_b32 s5, exec_lo
	ds_read_b64 v[6:7], v108
	ds_read_b64 v[8:9], v11 offset:3264
                                        ; implicit-def: $vgpr4_vgpr5
	s_waitcnt lgkmcnt(0)
	v_add_f64 v[0:1], v[6:7], v[8:9]
	v_add_f64 v[2:3], v[6:7], -v[8:9]
	v_cmpx_ne_u32_e32 0, v70
	s_xor_b32 s5, exec_lo, s5
	s_cbranch_execz .LBB0_16
; %bb.15:
	v_mov_b32_e32 v71, 0
	v_add_f64 v[14:15], v[6:7], v[8:9]
	v_add_f64 v[16:17], v[6:7], -v[8:9]
	v_lshlrev_b64 v[0:1], 4, v[70:71]
	v_add_co_u32 v0, s0, s1, v0
	v_add_co_ci_u32_e64 v1, s0, s4, v1, s0
	global_load_dwordx4 v[2:5], v[0:1], off
	ds_read_b64 v[0:1], v11 offset:3272
	ds_read_b64 v[12:13], v108 offset:8
	s_waitcnt lgkmcnt(0)
	v_add_f64 v[6:7], v[0:1], v[12:13]
	v_add_f64 v[0:1], v[12:13], -v[0:1]
	s_waitcnt vmcnt(0)
	v_fma_f64 v[8:9], v[16:17], v[4:5], v[14:15]
	v_fma_f64 v[12:13], -v[16:17], v[4:5], v[14:15]
	v_fma_f64 v[14:15], v[6:7], v[4:5], -v[0:1]
	v_fma_f64 v[4:5], v[6:7], v[4:5], v[0:1]
	v_fma_f64 v[0:1], -v[6:7], v[2:3], v[8:9]
	v_fma_f64 v[6:7], v[6:7], v[2:3], v[12:13]
	v_fma_f64 v[8:9], v[16:17], v[2:3], v[14:15]
	;; [unrolled: 1-line block ×3, first 2 shown]
	v_mov_b32_e32 v4, v70
	v_mov_b32_e32 v5, v71
	ds_write_b128 v11, v[6:9] offset:3264
.LBB0_16:
	s_andn2_saveexec_b32 s0, s5
	s_cbranch_execz .LBB0_18
; %bb.17:
	ds_read_b128 v[4:7], v107 offset:1632
	s_waitcnt lgkmcnt(0)
	v_add_f64 v[12:13], v[4:5], v[4:5]
	v_mul_f64 v[14:15], v[6:7], -2.0
	v_mov_b32_e32 v4, 0
	v_mov_b32_e32 v5, 0
	ds_write_b128 v107, v[12:15] offset:1632
.LBB0_18:
	s_or_b32 exec_lo, exec_lo, s0
	v_lshlrev_b64 v[4:5], 4, v[4:5]
	v_lshl_add_u32 v109, v70, 4, 0
	s_mov_b32 s33, exec_lo
	v_lshl_add_u32 v71, v10, 4, v109
	v_add_co_u32 v28, s0, s1, v4
	v_add_co_ci_u32_e64 v29, s0, s4, v5, s0
	s_clause 0x2
	global_load_dwordx4 v[4:7], v[28:29], off offset:272
	global_load_dwordx4 v[12:15], v[28:29], off offset:544
	;; [unrolled: 1-line block ×3, first 2 shown]
	ds_write_b128 v108, v[0:3]
	ds_read_b128 v[0:3], v108 offset:272
	ds_read_b128 v[20:23], v11 offset:2992
	global_load_dwordx4 v[24:27], v[28:29], off offset:1088
	s_waitcnt lgkmcnt(0)
	v_add_f64 v[8:9], v[0:1], v[20:21]
	v_add_f64 v[30:31], v[22:23], v[2:3]
	v_add_f64 v[20:21], v[0:1], -v[20:21]
	v_add_f64 v[0:1], v[2:3], -v[22:23]
	s_waitcnt vmcnt(3)
	v_fma_f64 v[2:3], v[20:21], v[6:7], v[8:9]
	v_fma_f64 v[22:23], v[30:31], v[6:7], v[0:1]
	v_fma_f64 v[8:9], -v[20:21], v[6:7], v[8:9]
	v_fma_f64 v[32:33], v[30:31], v[6:7], -v[0:1]
	v_fma_f64 v[0:1], -v[30:31], v[4:5], v[2:3]
	v_fma_f64 v[2:3], v[20:21], v[4:5], v[22:23]
	v_fma_f64 v[6:7], v[30:31], v[4:5], v[8:9]
	;; [unrolled: 1-line block ×3, first 2 shown]
	ds_write_b128 v108, v[0:3] offset:272
	ds_write_b128 v11, v[6:9] offset:2992
	ds_read_b128 v[0:3], v108 offset:544
	ds_read_b128 v[4:7], v11 offset:2720
	global_load_dwordx4 v[20:23], v[28:29], off offset:1360
	s_waitcnt lgkmcnt(0)
	v_add_f64 v[8:9], v[0:1], v[4:5]
	v_add_f64 v[28:29], v[6:7], v[2:3]
	v_add_f64 v[30:31], v[0:1], -v[4:5]
	v_add_f64 v[0:1], v[2:3], -v[6:7]
	s_waitcnt vmcnt(3)
	v_fma_f64 v[2:3], v[30:31], v[14:15], v[8:9]
	v_fma_f64 v[4:5], v[28:29], v[14:15], v[0:1]
	v_fma_f64 v[6:7], -v[30:31], v[14:15], v[8:9]
	v_fma_f64 v[8:9], v[28:29], v[14:15], -v[0:1]
	v_fma_f64 v[0:1], -v[28:29], v[12:13], v[2:3]
	v_fma_f64 v[2:3], v[30:31], v[12:13], v[4:5]
	v_fma_f64 v[4:5], v[28:29], v[12:13], v[6:7]
	v_fma_f64 v[6:7], v[30:31], v[12:13], v[8:9]
	ds_write_b128 v108, v[0:3] offset:544
	ds_write_b128 v11, v[4:7] offset:2720
	ds_read_b128 v[0:3], v108 offset:816
	ds_read_b128 v[4:7], v11 offset:2448
	s_waitcnt lgkmcnt(0)
	v_add_f64 v[8:9], v[0:1], v[4:5]
	v_add_f64 v[12:13], v[6:7], v[2:3]
	v_add_f64 v[14:15], v[0:1], -v[4:5]
	v_add_f64 v[0:1], v[2:3], -v[6:7]
	s_waitcnt vmcnt(2)
	v_fma_f64 v[2:3], v[14:15], v[18:19], v[8:9]
	v_fma_f64 v[4:5], v[12:13], v[18:19], v[0:1]
	v_fma_f64 v[6:7], -v[14:15], v[18:19], v[8:9]
	v_fma_f64 v[8:9], v[12:13], v[18:19], -v[0:1]
	v_fma_f64 v[0:1], -v[12:13], v[16:17], v[2:3]
	v_fma_f64 v[2:3], v[14:15], v[16:17], v[4:5]
	v_fma_f64 v[4:5], v[12:13], v[16:17], v[6:7]
	v_fma_f64 v[6:7], v[14:15], v[16:17], v[8:9]
	ds_write_b128 v108, v[0:3] offset:816
	ds_write_b128 v11, v[4:7] offset:2448
	ds_read_b128 v[0:3], v108 offset:1088
	ds_read_b128 v[4:7], v11 offset:2176
	;; [unrolled: 18-line block ×3, first 2 shown]
	s_waitcnt lgkmcnt(0)
	v_add_f64 v[8:9], v[0:1], v[4:5]
	v_add_f64 v[12:13], v[6:7], v[2:3]
	v_add_f64 v[14:15], v[0:1], -v[4:5]
	v_add_f64 v[0:1], v[2:3], -v[6:7]
	s_waitcnt vmcnt(0)
	v_fma_f64 v[2:3], v[14:15], v[22:23], v[8:9]
	v_fma_f64 v[4:5], v[12:13], v[22:23], v[0:1]
	v_fma_f64 v[6:7], -v[14:15], v[22:23], v[8:9]
	v_fma_f64 v[8:9], v[12:13], v[22:23], -v[0:1]
	v_fma_f64 v[0:1], -v[12:13], v[20:21], v[2:3]
	v_fma_f64 v[2:3], v[14:15], v[20:21], v[4:5]
	v_fma_f64 v[4:5], v[12:13], v[20:21], v[6:7]
	;; [unrolled: 1-line block ×3, first 2 shown]
	ds_write_b128 v108, v[0:3] offset:1360
	ds_write_b128 v11, v[4:7] offset:1904
	s_waitcnt lgkmcnt(0)
	s_barrier
	buffer_gl0_inv
	s_barrier
	buffer_gl0_inv
	ds_read_b128 v[0:3], v108
	ds_read_b128 v[64:67], v71 offset:192
	ds_read_b128 v[60:63], v71 offset:384
	;; [unrolled: 1-line block ×16, first 2 shown]
	s_waitcnt lgkmcnt(0)
	s_barrier
	buffer_gl0_inv
	v_cmpx_gt_u32_e32 12, v70
	s_cbranch_execz .LBB0_20
; %bb.19:
	v_add_f64 v[74:75], v[2:3], v[66:67]
	v_add_f64 v[76:77], v[0:1], v[64:65]
	v_add_f64 v[104:105], v[64:65], -v[4:5]
	v_add_f64 v[102:103], v[66:67], -v[6:7]
	s_mov_b32 s4, 0xacd6c6b4
	s_mov_b32 s5, 0xbfc7851a
	v_add_f64 v[96:97], v[60:61], -v[8:9]
	v_add_f64 v[92:93], v[62:63], -v[10:11]
	v_add_f64 v[98:99], v[66:67], v[6:7]
	v_add_f64 v[100:101], v[64:65], v[4:5]
	s_mov_b32 s8, 0x5d8e7cdc
	s_mov_b32 s0, 0x7faef3
	;; [unrolled: 1-line block ×4, first 2 shown]
	v_add_f64 v[94:95], v[56:57], -v[12:13]
	v_add_f64 v[88:89], v[58:59], -v[14:15]
	v_add_f64 v[66:67], v[62:63], v[10:11]
	s_mov_b32 s16, 0x4363dd80
	s_mov_b32 s6, 0x370991
	;; [unrolled: 1-line block ×4, first 2 shown]
	v_add_f64 v[90:91], v[52:53], -v[16:17]
	v_add_f64 v[74:75], v[74:75], v[62:63]
	v_add_f64 v[76:77], v[76:77], v[60:61]
	v_mul_f64 v[110:111], v[104:105], s[4:5]
	v_mul_f64 v[112:113], v[102:103], s[4:5]
	v_add_f64 v[60:61], v[60:61], v[8:9]
	v_add_f64 v[84:85], v[54:55], -v[18:19]
	v_mul_f64 v[114:115], v[96:97], s[8:9]
	v_mul_f64 v[116:117], v[92:93], s[8:9]
	v_add_f64 v[64:65], v[58:59], v[14:15]
	s_mov_b32 s28, 0x2a9d6da3
	s_mov_b32 s14, 0x910ea3b9
	;; [unrolled: 1-line block ×4, first 2 shown]
	v_add_f64 v[86:87], v[48:49], -v[20:21]
	v_mul_f64 v[118:119], v[94:95], s[16:17]
	v_mul_f64 v[120:121], v[88:89], s[16:17]
	v_add_f64 v[82:83], v[50:51], -v[22:23]
	s_mov_b32 s24, 0x6c9a05f6
	s_mov_b32 s18, 0x75d4884
	;; [unrolled: 1-line block ×4, first 2 shown]
	v_mul_f64 v[122:123], v[90:91], s[28:29]
	v_add_f64 v[74:75], v[74:75], v[58:59]
	v_add_f64 v[76:77], v[76:77], v[56:57]
	v_add_f64 v[56:57], v[56:57], v[12:13]
	v_fma_f64 v[78:79], v[100:101], s[0:1], -v[112:113]
	s_mov_b32 s26, 0x7c9e640b
	v_mul_f64 v[124:125], v[84:85], s[28:29]
	s_mov_b32 s20, 0x6ed5f1bb
	v_fma_f64 v[80:81], v[60:61], s[6:7], -v[116:117]
	s_mov_b32 s27, 0x3feca52d
	s_mov_b32 s21, 0xbfe348c8
	;; [unrolled: 1-line block ×5, first 2 shown]
	v_mul_f64 v[130:131], v[86:87], s[24:25]
	v_fma_f64 v[126:127], v[64:65], s[14:15], v[118:119]
	s_mov_b32 s23, 0x3fdc86fa
	v_mul_f64 v[132:133], v[82:83], s[24:25]
	s_mov_b32 s50, 0xeb564b22
	s_mov_b32 s30, 0xc61f0d01
	;; [unrolled: 1-line block ×5, first 2 shown]
	v_add_f64 v[62:63], v[74:75], v[54:55]
	v_add_f64 v[74:75], v[76:77], v[52:53]
	v_fma_f64 v[76:77], v[98:99], s[0:1], v[110:111]
	v_add_f64 v[78:79], v[0:1], v[78:79]
	v_add_f64 v[54:55], v[54:55], v[18:19]
	;; [unrolled: 1-line block ×3, first 2 shown]
	v_fma_f64 v[128:129], v[56:57], s[14:15], -v[120:121]
	s_mov_b32 s37, 0x3fb79ee6
	v_fma_f64 v[110:111], v[98:99], s[0:1], -v[110:111]
	s_mov_b32 s39, 0xbfefdd0d
	s_mov_b32 s43, 0x3feec746
	;; [unrolled: 1-line block ×4, first 2 shown]
	v_mul_f64 v[156:157], v[102:103], s[24:25]
	v_mul_f64 v[158:159], v[94:95], s[38:39]
	;; [unrolled: 1-line block ×4, first 2 shown]
	v_fma_f64 v[116:117], v[60:61], s[6:7], v[116:117]
	s_mov_b32 s49, 0x3fe9895b
	s_mov_b32 s41, 0xbfd71e95
	;; [unrolled: 1-line block ×4, first 2 shown]
	v_add_f64 v[58:59], v[62:63], v[50:51]
	v_add_f64 v[62:63], v[74:75], v[48:49]
	v_fma_f64 v[74:75], v[66:67], s[6:7], v[114:115]
	v_add_f64 v[76:77], v[2:3], v[76:77]
	v_add_f64 v[50:51], v[50:51], v[22:23]
	;; [unrolled: 1-line block ×3, first 2 shown]
	v_fma_f64 v[134:135], v[54:55], s[18:19], v[122:123]
	v_fma_f64 v[136:137], v[52:53], s[18:19], -v[124:125]
	v_fma_f64 v[114:115], v[66:67], s[6:7], -v[114:115]
	v_add_f64 v[110:111], v[2:3], v[110:111]
	v_fma_f64 v[118:119], v[64:65], s[14:15], -v[118:119]
	v_fma_f64 v[120:121], v[56:57], s[14:15], v[120:121]
	v_fma_f64 v[122:123], v[54:55], s[18:19], -v[122:123]
	v_fma_f64 v[124:125], v[52:53], s[18:19], v[124:125]
	s_mov_b32 s47, 0x3fe0d888
	s_mov_b32 s46, s16
	;; [unrolled: 1-line block ×6, first 2 shown]
	v_add_f64 v[58:59], v[58:59], v[46:47]
	v_add_f64 v[62:63], v[62:63], v[44:45]
	;; [unrolled: 1-line block ×4, first 2 shown]
	v_add_f64 v[80:81], v[44:45], -v[24:25]
	v_add_f64 v[78:79], v[46:47], -v[26:27]
	v_add_f64 v[46:47], v[46:47], v[26:27]
	v_add_f64 v[44:45], v[44:45], v[24:25]
	v_fma_f64 v[146:147], v[50:51], s[20:21], v[130:131]
	v_fma_f64 v[148:149], v[48:49], s[20:21], -v[132:133]
	v_add_f64 v[110:111], v[114:115], v[110:111]
	v_mul_f64 v[114:115], v[92:93], s[42:43]
	v_fma_f64 v[130:131], v[50:51], s[20:21], -v[130:131]
	v_fma_f64 v[132:133], v[48:49], s[20:21], v[132:133]
	v_add_f64 v[58:59], v[58:59], v[42:43]
	v_add_f64 v[62:63], v[62:63], v[40:41]
	;; [unrolled: 1-line block ×4, first 2 shown]
	v_add_f64 v[76:77], v[40:41], -v[28:29]
	v_add_f64 v[74:75], v[42:43], -v[30:31]
	v_mul_f64 v[142:143], v[80:81], s[26:27]
	v_mul_f64 v[144:145], v[78:79], s[26:27]
	v_add_f64 v[42:43], v[42:43], v[30:31]
	v_add_f64 v[40:41], v[40:41], v[28:29]
	;; [unrolled: 1-line block ×3, first 2 shown]
	v_mul_f64 v[118:119], v[86:87], s[40:41]
	v_add_f64 v[138:139], v[58:59], v[34:35]
	v_add_f64 v[140:141], v[62:63], v[32:33]
	v_add_f64 v[62:63], v[32:33], -v[36:37]
	v_add_f64 v[126:127], v[134:135], v[126:127]
	v_add_f64 v[128:129], v[136:137], v[128:129]
	v_add_f64 v[58:59], v[34:35], -v[38:39]
	v_add_f64 v[34:35], v[34:35], v[38:39]
	v_fma_f64 v[150:151], v[46:47], s[22:23], v[142:143]
	v_fma_f64 v[152:153], v[44:45], s[22:23], -v[144:145]
	v_add_f64 v[32:33], v[32:33], v[36:37]
	v_fma_f64 v[142:143], v[46:47], s[22:23], -v[142:143]
	v_add_f64 v[110:111], v[122:123], v[110:111]
	v_mul_f64 v[122:123], v[78:79], s[4:5]
	v_fma_f64 v[144:145], v[44:45], s[22:23], v[144:145]
	v_add_f64 v[134:135], v[138:139], v[38:39]
	v_add_f64 v[136:137], v[140:141], v[36:37]
	v_mul_f64 v[138:139], v[76:77], s[34:35]
	v_mul_f64 v[140:141], v[74:75], s[34:35]
	v_add_f64 v[126:127], v[146:147], v[126:127]
	v_add_f64 v[128:129], v[148:149], v[128:129]
	v_mul_f64 v[148:149], v[102:103], s[16:17]
	v_add_f64 v[110:111], v[130:131], v[110:111]
	v_mul_f64 v[130:131], v[62:63], s[34:35]
	v_add_f64 v[36:37], v[134:135], v[30:31]
	v_add_f64 v[38:39], v[136:137], v[28:29]
	v_mul_f64 v[28:29], v[62:63], s[50:51]
	v_mul_f64 v[30:31], v[58:59], s[50:51]
	;; [unrolled: 1-line block ×3, first 2 shown]
	v_fma_f64 v[136:137], v[42:43], s[30:31], v[138:139]
	v_fma_f64 v[146:147], v[40:41], s[30:31], -v[140:141]
	v_add_f64 v[126:127], v[150:151], v[126:127]
	v_add_f64 v[128:129], v[152:153], v[128:129]
	v_fma_f64 v[154:155], v[100:101], s[14:15], -v[148:149]
	v_fma_f64 v[148:149], v[100:101], s[14:15], v[148:149]
	v_add_f64 v[110:111], v[142:143], v[110:111]
	v_fma_f64 v[138:139], v[42:43], s[30:31], -v[138:139]
	v_fma_f64 v[140:141], v[40:41], s[30:31], v[140:141]
	v_mul_f64 v[142:143], v[58:59], s[34:35]
	v_add_f64 v[26:27], v[36:37], v[26:27]
	v_add_f64 v[24:25], v[38:39], v[24:25]
	v_mul_f64 v[36:37], v[96:97], s[26:27]
	v_fma_f64 v[38:39], v[100:101], s[0:1], v[112:113]
	v_fma_f64 v[112:113], v[34:35], s[36:37], v[28:29]
	v_fma_f64 v[150:151], v[32:33], s[36:37], -v[30:31]
	v_fma_f64 v[152:153], v[98:99], s[14:15], v[134:135]
	v_add_f64 v[126:127], v[136:137], v[126:127]
	v_add_f64 v[128:129], v[146:147], v[128:129]
	v_mul_f64 v[136:137], v[104:105], s[24:25]
	v_mul_f64 v[146:147], v[92:93], s[26:27]
	v_fma_f64 v[134:135], v[98:99], s[14:15], -v[134:135]
	v_add_f64 v[148:149], v[0:1], v[148:149]
	v_add_f64 v[110:111], v[138:139], v[110:111]
	v_fma_f64 v[30:31], v[32:33], s[36:37], v[30:31]
	v_add_f64 v[26:27], v[26:27], v[22:23]
	v_add_f64 v[24:25], v[24:25], v[20:21]
	v_fma_f64 v[164:165], v[66:67], s[22:23], v[36:37]
	v_add_f64 v[38:39], v[0:1], v[38:39]
	v_fma_f64 v[36:37], v[66:67], s[22:23], -v[36:37]
	v_add_f64 v[152:153], v[2:3], v[152:153]
	v_add_f64 v[22:23], v[112:113], v[126:127]
	v_add_f64 v[20:21], v[150:151], v[128:129]
	v_fma_f64 v[112:113], v[98:99], s[20:21], v[136:137]
	v_fma_f64 v[126:127], v[60:61], s[22:23], -v[146:147]
	v_add_f64 v[128:129], v[0:1], v[154:155]
	v_add_f64 v[134:135], v[2:3], v[134:135]
	v_fma_f64 v[146:147], v[60:61], s[22:23], v[146:147]
	v_fma_f64 v[136:137], v[98:99], s[20:21], -v[136:137]
	v_fma_f64 v[154:155], v[64:65], s[36:37], -v[158:159]
	v_add_f64 v[18:19], v[26:27], v[18:19]
	v_add_f64 v[16:17], v[24:25], v[16:17]
	v_mul_f64 v[24:25], v[90:91], s[48:49]
	v_mul_f64 v[26:27], v[94:95], s[40:41]
	v_add_f64 v[38:39], v[116:117], v[38:39]
	v_fma_f64 v[116:117], v[100:101], s[20:21], -v[156:157]
	v_add_f64 v[150:151], v[164:165], v[152:153]
	v_fma_f64 v[152:153], v[66:67], s[30:31], v[160:161]
	v_fma_f64 v[160:161], v[66:67], s[30:31], -v[160:161]
	v_add_f64 v[112:113], v[2:3], v[112:113]
	v_fma_f64 v[156:157], v[100:101], s[20:21], v[156:157]
	v_add_f64 v[126:127], v[126:127], v[128:129]
	v_fma_f64 v[128:129], v[64:65], s[36:37], v[158:159]
	v_add_f64 v[36:37], v[36:37], v[134:135]
	v_fma_f64 v[134:135], v[56:57], s[36:37], -v[162:163]
	v_add_f64 v[146:147], v[146:147], v[148:149]
	v_mul_f64 v[148:149], v[84:85], s[48:49]
	v_fma_f64 v[158:159], v[56:57], s[36:37], v[162:163]
	v_add_f64 v[136:137], v[2:3], v[136:137]
	v_fma_f64 v[162:163], v[34:35], s[36:37], -v[28:29]
	v_mul_f64 v[28:29], v[62:63], s[26:27]
	v_add_f64 v[14:15], v[18:19], v[14:15]
	v_add_f64 v[12:13], v[16:17], v[12:13]
	v_mul_f64 v[16:17], v[88:89], s[40:41]
	v_mul_f64 v[18:19], v[90:91], s[16:17]
	v_add_f64 v[38:39], v[120:121], v[38:39]
	v_fma_f64 v[120:121], v[60:61], s[30:31], -v[114:115]
	v_add_f64 v[116:117], v[0:1], v[116:117]
	v_fma_f64 v[114:115], v[60:61], s[30:31], v[114:115]
	v_add_f64 v[112:113], v[152:153], v[112:113]
	v_fma_f64 v[152:153], v[64:65], s[6:7], v[26:27]
	v_fma_f64 v[26:27], v[64:65], s[6:7], -v[26:27]
	v_add_f64 v[128:129], v[128:129], v[150:151]
	v_fma_f64 v[150:151], v[54:55], s[20:21], v[24:25]
	v_add_f64 v[126:127], v[134:135], v[126:127]
	v_add_f64 v[36:37], v[154:155], v[36:37]
	v_fma_f64 v[134:135], v[52:53], s[20:21], -v[148:149]
	v_mul_f64 v[154:155], v[82:83], s[40:41]
	v_fma_f64 v[24:25], v[54:55], s[20:21], -v[24:25]
	v_add_f64 v[146:147], v[158:159], v[146:147]
	v_mul_f64 v[158:159], v[80:81], s[4:5]
	v_fma_f64 v[148:149], v[52:53], s[20:21], v[148:149]
	v_add_f64 v[136:137], v[160:161], v[136:137]
	v_add_f64 v[156:157], v[0:1], v[156:157]
	v_fma_f64 v[160:161], v[56:57], s[6:7], -v[16:17]
	v_fma_f64 v[16:17], v[56:57], s[6:7], v[16:17]
	v_add_f64 v[38:39], v[124:125], v[38:39]
	v_mul_f64 v[124:125], v[84:85], s[16:17]
	v_add_f64 v[116:117], v[120:121], v[116:117]
	v_mul_f64 v[120:121], v[86:87], s[50:51]
	v_add_f64 v[164:165], v[14:15], v[10:11]
	v_add_f64 v[166:167], v[12:13], v[8:9]
	;; [unrolled: 1-line block ×3, first 2 shown]
	v_fma_f64 v[152:153], v[54:55], s[14:15], v[18:19]
	v_fma_f64 v[18:19], v[54:55], s[14:15], -v[18:19]
	v_add_f64 v[128:129], v[150:151], v[128:129]
	v_fma_f64 v[150:151], v[50:51], s[6:7], v[118:119]
	v_fma_f64 v[118:119], v[50:51], s[6:7], -v[118:119]
	v_add_f64 v[126:127], v[134:135], v[126:127]
	v_fma_f64 v[134:135], v[48:49], s[6:7], -v[154:155]
	v_add_f64 v[24:25], v[24:25], v[36:37]
	v_mul_f64 v[36:37], v[76:77], s[28:29]
	v_fma_f64 v[154:155], v[48:49], s[6:7], v[154:155]
	v_add_f64 v[146:147], v[148:149], v[146:147]
	v_mul_f64 v[148:149], v[74:75], s[28:29]
	v_add_f64 v[26:27], v[26:27], v[136:137]
	v_mul_f64 v[136:137], v[96:97], s[46:47]
	v_add_f64 v[114:115], v[114:115], v[156:157]
	v_add_f64 v[38:39], v[132:133], v[38:39]
	v_mul_f64 v[132:133], v[82:83], s[50:51]
	v_add_f64 v[116:117], v[160:161], v[116:117]
	v_fma_f64 v[160:161], v[52:53], s[14:15], -v[124:125]
	v_mul_f64 v[156:157], v[76:77], s[4:5]
	v_fma_f64 v[12:13], v[34:35], s[30:31], v[130:131]
	v_fma_f64 v[124:125], v[52:53], s[14:15], v[124:125]
	v_add_f64 v[112:113], v[152:153], v[112:113]
	v_mul_f64 v[152:153], v[104:105], s[34:35]
	v_add_f64 v[10:11], v[162:163], v[110:111]
	v_add_f64 v[128:129], v[150:151], v[128:129]
	v_fma_f64 v[150:151], v[50:51], s[36:37], v[120:121]
	v_mul_f64 v[110:111], v[104:105], s[38:39]
	v_add_f64 v[126:127], v[134:135], v[126:127]
	v_fma_f64 v[134:135], v[46:47], s[0:1], v[158:159]
	v_add_f64 v[24:25], v[118:119], v[24:25]
	v_fma_f64 v[118:119], v[44:45], s[0:1], -v[122:123]
	v_fma_f64 v[158:159], v[46:47], s[0:1], -v[158:159]
	v_add_f64 v[146:147], v[154:155], v[146:147]
	v_fma_f64 v[122:123], v[44:45], s[0:1], v[122:123]
	v_mul_f64 v[154:155], v[80:81], s[44:45]
	v_fma_f64 v[14:15], v[66:67], s[14:15], v[136:137]
	v_add_f64 v[38:39], v[144:145], v[38:39]
	v_mul_f64 v[144:145], v[78:79], s[44:45]
	v_fma_f64 v[138:139], v[48:49], s[36:37], -v[132:133]
	v_add_f64 v[116:117], v[160:161], v[116:117]
	v_mul_f64 v[160:161], v[102:103], s[34:35]
	v_add_f64 v[16:17], v[16:17], v[114:115]
	v_fma_f64 v[114:115], v[32:33], s[30:31], -v[142:143]
	v_add_f64 v[26:27], v[18:19], v[26:27]
	v_fma_f64 v[136:137], v[66:67], s[14:15], -v[136:137]
	v_fma_f64 v[130:131], v[34:35], s[30:31], -v[130:131]
	v_fma_f64 v[142:143], v[32:33], s[30:31], v[142:143]
	v_add_f64 v[112:113], v[150:151], v[112:113]
	v_fma_f64 v[150:151], v[98:99], s[30:31], v[152:153]
	v_add_f64 v[6:7], v[164:165], v[6:7]
	v_add_f64 v[128:129], v[134:135], v[128:129]
	v_fma_f64 v[134:135], v[42:43], s[18:19], v[36:37]
	v_add_f64 v[118:119], v[118:119], v[126:127]
	v_fma_f64 v[126:127], v[40:41], s[18:19], -v[148:149]
	v_add_f64 v[24:25], v[158:159], v[24:25]
	v_fma_f64 v[36:37], v[42:43], s[18:19], -v[36:37]
	v_add_f64 v[122:123], v[122:123], v[146:147]
	v_mul_f64 v[146:147], v[94:95], s[28:29]
	v_add_f64 v[38:39], v[140:141], v[38:39]
	v_fma_f64 v[148:149], v[40:41], s[18:19], v[148:149]
	v_mul_f64 v[158:159], v[74:75], s[4:5]
	v_fma_f64 v[140:141], v[46:47], s[18:19], v[154:155]
	v_add_f64 v[116:117], v[138:139], v[116:117]
	v_fma_f64 v[138:139], v[44:45], s[18:19], -v[144:145]
	v_fma_f64 v[18:19], v[100:101], s[30:31], v[160:161]
	v_mul_f64 v[162:163], v[102:103], s[38:39]
	v_mul_f64 v[164:165], v[86:87], s[4:5]
	v_fma_f64 v[120:121], v[50:51], s[36:37], -v[120:121]
	v_fma_f64 v[154:155], v[46:47], s[18:19], -v[154:155]
	v_add_f64 v[4:5], v[166:167], v[4:5]
	v_add_f64 v[150:151], v[2:3], v[150:151]
	;; [unrolled: 1-line block ×3, first 2 shown]
	v_mul_f64 v[134:135], v[92:93], s[46:47]
	v_add_f64 v[118:119], v[126:127], v[118:119]
	v_fma_f64 v[126:127], v[100:101], s[30:31], -v[160:161]
	v_add_f64 v[24:25], v[36:37], v[24:25]
	v_fma_f64 v[36:37], v[98:99], s[30:31], -v[152:153]
	v_mul_f64 v[160:161], v[88:89], s[28:29]
	v_add_f64 v[8:9], v[30:31], v[38:39]
	v_add_f64 v[38:39], v[148:149], v[122:123]
	v_fma_f64 v[148:149], v[64:65], s[18:19], v[146:147]
	v_add_f64 v[112:113], v[140:141], v[112:113]
	v_fma_f64 v[140:141], v[42:43], s[0:1], v[156:157]
	v_mul_f64 v[30:31], v[58:59], s[26:27]
	v_fma_f64 v[146:147], v[64:65], s[18:19], -v[146:147]
	v_fma_f64 v[156:157], v[42:43], s[0:1], -v[156:157]
	v_add_f64 v[120:121], v[120:121], v[26:27]
	v_add_f64 v[122:123], v[14:15], v[150:151]
	v_mul_f64 v[150:151], v[90:91], s[52:53]
	v_add_f64 v[14:15], v[12:13], v[128:129]
	v_fma_f64 v[152:153], v[60:61], s[14:15], -v[134:135]
	v_add_f64 v[12:13], v[114:115], v[118:119]
	v_add_f64 v[126:127], v[0:1], v[126:127]
	;; [unrolled: 1-line block ×4, first 2 shown]
	v_fma_f64 v[116:117], v[40:41], s[0:1], -v[158:159]
	v_add_f64 v[118:119], v[124:125], v[16:17]
	v_fma_f64 v[124:125], v[48:49], s[36:37], v[132:133]
	v_fma_f64 v[128:129], v[60:61], s[14:15], v[134:135]
	v_add_f64 v[132:133], v[0:1], v[18:19]
	v_fma_f64 v[134:135], v[98:99], s[36:37], v[110:111]
	v_mul_f64 v[138:139], v[96:97], s[4:5]
	v_add_f64 v[18:19], v[130:131], v[24:25]
	v_add_f64 v[24:25], v[140:141], v[112:113]
	v_fma_f64 v[112:113], v[34:35], s[22:23], v[28:29]
	v_add_f64 v[16:17], v[142:143], v[38:39]
	v_mul_f64 v[140:141], v[92:93], s[4:5]
	v_fma_f64 v[142:143], v[50:51], s[0:1], v[164:165]
	v_add_f64 v[122:123], v[148:149], v[122:123]
	v_fma_f64 v[148:149], v[54:55], s[22:23], v[150:151]
	v_fma_f64 v[150:151], v[54:55], s[22:23], -v[150:151]
	v_fma_f64 v[110:111], v[98:99], s[36:37], -v[110:111]
	v_add_f64 v[120:121], v[154:155], v[120:121]
	v_mul_f64 v[154:155], v[74:75], s[40:41]
	v_add_f64 v[126:127], v[152:153], v[126:127]
	v_fma_f64 v[152:153], v[56:57], s[18:19], -v[160:161]
	v_add_f64 v[36:37], v[136:137], v[36:37]
	v_mul_f64 v[136:137], v[84:85], s[52:53]
	v_add_f64 v[38:39], v[116:117], v[114:115]
	v_fma_f64 v[114:115], v[32:33], s[22:23], -v[30:31]
	v_add_f64 v[116:117], v[124:125], v[118:119]
	v_add_f64 v[118:119], v[128:129], v[132:133]
	v_fma_f64 v[124:125], v[56:57], s[18:19], v[160:161]
	v_add_f64 v[128:129], v[2:3], v[134:135]
	v_fma_f64 v[130:131], v[66:67], s[0:1], v[138:139]
	v_mul_f64 v[132:133], v[94:95], s[42:43]
	v_fma_f64 v[134:135], v[100:101], s[36:37], -v[162:163]
	v_add_f64 v[26:27], v[112:113], v[24:25]
	v_fma_f64 v[112:113], v[44:45], s[18:19], v[144:145]
	v_fma_f64 v[160:161], v[50:51], s[0:1], -v[164:165]
	v_fma_f64 v[138:139], v[66:67], s[0:1], -v[138:139]
	v_add_f64 v[122:123], v[148:149], v[122:123]
	v_mul_f64 v[148:149], v[80:81], s[50:51]
	v_add_f64 v[110:111], v[2:3], v[110:111]
	v_add_f64 v[120:121], v[156:157], v[120:121]
	v_fma_f64 v[28:29], v[34:35], s[22:23], -v[28:29]
	v_fma_f64 v[30:31], v[32:33], s[22:23], v[30:31]
	v_add_f64 v[126:127], v[152:153], v[126:127]
	v_add_f64 v[36:37], v[146:147], v[36:37]
	v_fma_f64 v[152:153], v[52:53], s[22:23], -v[136:137]
	v_mul_f64 v[146:147], v[82:83], s[4:5]
	v_add_f64 v[24:25], v[114:115], v[38:39]
	v_fma_f64 v[114:115], v[52:53], s[22:23], v[136:137]
	v_mul_f64 v[136:137], v[88:89], s[42:43]
	v_add_f64 v[38:39], v[124:125], v[118:119]
	v_add_f64 v[118:119], v[130:131], v[128:129]
	v_fma_f64 v[124:125], v[64:65], s[30:31], v[132:133]
	v_mul_f64 v[128:129], v[90:91], s[8:9]
	v_add_f64 v[130:131], v[0:1], v[134:135]
	v_fma_f64 v[134:135], v[60:61], s[0:1], -v[140:141]
	v_add_f64 v[112:113], v[112:113], v[116:117]
	v_fma_f64 v[140:141], v[60:61], s[0:1], v[140:141]
	v_add_f64 v[122:123], v[142:143], v[122:123]
	v_fma_f64 v[142:143], v[46:47], s[36:37], v[148:149]
	v_fma_f64 v[148:149], v[46:47], s[36:37], -v[148:149]
	v_add_f64 v[110:111], v[138:139], v[110:111]
	v_fma_f64 v[132:133], v[64:65], s[30:31], -v[132:133]
	v_mul_f64 v[138:139], v[82:83], s[52:53]
	v_add_f64 v[36:37], v[150:151], v[36:37]
	v_add_f64 v[126:127], v[152:153], v[126:127]
	v_fma_f64 v[144:145], v[48:49], s[0:1], -v[146:147]
	v_mul_f64 v[150:151], v[78:79], s[50:51]
	v_fma_f64 v[152:153], v[100:101], s[36:37], v[162:163]
	v_mul_f64 v[162:163], v[104:105], s[52:53]
	v_add_f64 v[38:39], v[114:115], v[38:39]
	v_fma_f64 v[114:115], v[48:49], s[0:1], v[146:147]
	v_mul_f64 v[146:147], v[84:85], s[8:9]
	v_add_f64 v[116:117], v[124:125], v[118:119]
	;; [unrolled: 3-line block ×3, first 2 shown]
	v_fma_f64 v[134:135], v[56:57], s[30:31], -v[136:137]
	v_fma_f64 v[136:137], v[56:57], s[30:31], v[136:137]
	s_mov_b32 s51, 0x3fc7851a
	v_add_f64 v[122:123], v[142:143], v[122:123]
	v_mul_f64 v[142:143], v[76:77], s[40:41]
	s_mov_b32 s50, s4
	v_add_f64 v[110:111], v[132:133], v[110:111]
	v_mul_f64 v[132:133], v[78:79], s[16:17]
	v_fma_f64 v[128:129], v[54:55], s[6:7], -v[128:129]
	v_add_f64 v[160:161], v[160:161], v[36:37]
	v_fma_f64 v[36:37], v[40:41], s[0:1], v[158:159]
	v_add_f64 v[126:127], v[144:145], v[126:127]
	v_fma_f64 v[144:145], v[44:45], s[36:37], -v[150:151]
	v_add_f64 v[152:153], v[0:1], v[152:153]
	v_fma_f64 v[156:157], v[98:99], s[22:23], v[162:163]
	v_mul_f64 v[158:159], v[102:103], s[52:53]
	v_add_f64 v[38:39], v[114:115], v[38:39]
	v_fma_f64 v[114:115], v[44:45], s[36:37], v[150:151]
	v_mul_f64 v[150:151], v[80:81], s[16:17]
	v_add_f64 v[116:117], v[118:119], v[116:117]
	v_fma_f64 v[118:119], v[50:51], s[22:23], v[124:125]
	v_fma_f64 v[124:125], v[50:51], s[22:23], -v[124:125]
	v_add_f64 v[130:131], v[134:135], v[130:131]
	v_fma_f64 v[134:135], v[52:53], s[6:7], -v[146:147]
	v_add_f64 v[110:111], v[128:129], v[110:111]
	v_add_f64 v[148:149], v[148:149], v[160:161]
	;; [unrolled: 1-line block ×3, first 2 shown]
	v_mul_f64 v[112:113], v[96:97], s[24:25]
	v_add_f64 v[126:127], v[144:145], v[126:127]
	v_fma_f64 v[144:145], v[42:43], s[6:7], v[142:143]
	v_add_f64 v[140:141], v[140:141], v[152:153]
	v_fma_f64 v[152:153], v[40:41], s[6:7], -v[154:155]
	v_fma_f64 v[160:161], v[98:99], s[22:23], -v[162:163]
	v_add_f64 v[38:39], v[114:115], v[38:39]
	v_mul_f64 v[128:129], v[74:75], s[48:49]
	v_fma_f64 v[154:155], v[40:41], s[6:7], v[154:155]
	v_add_f64 v[114:115], v[118:119], v[116:117]
	v_fma_f64 v[116:117], v[46:47], s[14:15], v[150:151]
	v_fma_f64 v[150:151], v[46:47], s[14:15], -v[150:151]
	v_add_f64 v[118:119], v[134:135], v[130:131]
	v_fma_f64 v[130:131], v[48:49], s[22:23], -v[138:139]
	v_fma_f64 v[134:135], v[42:43], s[6:7], -v[142:143]
	v_add_f64 v[142:143], v[2:3], v[156:157]
	v_mul_f64 v[156:157], v[92:93], s[24:25]
	v_fma_f64 v[138:139], v[48:49], s[22:23], v[138:139]
	v_add_f64 v[110:111], v[124:125], v[110:111]
	v_add_f64 v[122:123], v[144:145], v[122:123]
	;; [unrolled: 1-line block ×3, first 2 shown]
	v_fma_f64 v[140:141], v[52:53], s[6:7], v[146:147]
	v_fma_f64 v[144:145], v[66:67], s[20:21], v[112:113]
	v_mul_f64 v[146:147], v[94:95], s[50:51]
	v_add_f64 v[126:127], v[152:153], v[126:127]
	v_fma_f64 v[152:153], v[100:101], s[22:23], -v[158:159]
	v_fma_f64 v[112:113], v[66:67], s[20:21], -v[112:113]
	v_add_f64 v[160:161], v[2:3], v[160:161]
	v_fma_f64 v[158:159], v[100:101], s[22:23], v[158:159]
	v_add_f64 v[114:115], v[116:117], v[114:115]
	v_mul_f64 v[116:117], v[76:77], s[48:49]
	v_add_f64 v[118:119], v[130:131], v[118:119]
	v_fma_f64 v[130:131], v[44:45], s[14:15], -v[132:133]
	v_add_f64 v[134:135], v[134:135], v[148:149]
	v_fma_f64 v[124:125], v[40:41], s[20:21], -v[128:129]
	v_fma_f64 v[132:133], v[44:45], s[14:15], v[132:133]
	v_add_f64 v[154:155], v[154:155], v[38:39]
	v_mul_f64 v[38:39], v[102:103], s[44:45]
	v_mul_f64 v[102:103], v[102:103], s[40:41]
	v_add_f64 v[110:111], v[150:151], v[110:111]
	v_mul_f64 v[150:151], v[96:97], s[38:39]
	v_mul_f64 v[96:97], v[96:97], s[44:45]
	v_fma_f64 v[128:129], v[40:41], s[20:21], v[128:129]
	v_add_f64 v[136:137], v[140:141], v[136:137]
	v_add_f64 v[140:141], v[144:145], v[142:143]
	v_fma_f64 v[142:143], v[64:65], s[0:1], v[146:147]
	v_mul_f64 v[144:145], v[90:91], s[42:43]
	v_add_f64 v[148:149], v[0:1], v[152:153]
	v_fma_f64 v[152:153], v[60:61], s[20:21], -v[156:157]
	v_add_f64 v[112:113], v[112:113], v[160:161]
	v_mul_f64 v[160:161], v[88:89], s[50:51]
	v_fma_f64 v[146:147], v[64:65], s[0:1], -v[146:147]
	v_fma_f64 v[156:157], v[60:61], s[20:21], v[156:157]
	v_add_f64 v[158:159], v[0:1], v[158:159]
	v_add_f64 v[118:119], v[130:131], v[118:119]
	v_fma_f64 v[130:131], v[42:43], s[20:21], v[116:117]
	v_fma_f64 v[116:117], v[42:43], s[20:21], -v[116:117]
	v_add_f64 v[136:137], v[138:139], v[136:137]
	v_add_f64 v[138:139], v[142:143], v[140:141]
	v_fma_f64 v[140:141], v[54:55], s[30:31], v[144:145]
	v_mul_f64 v[142:143], v[86:87], s[28:29]
	v_add_f64 v[148:149], v[152:153], v[148:149]
	v_fma_f64 v[144:145], v[54:55], s[30:31], -v[144:145]
	v_fma_f64 v[152:153], v[56:57], s[0:1], -v[160:161]
	v_add_f64 v[112:113], v[146:147], v[112:113]
	v_mul_f64 v[146:147], v[84:85], s[42:43]
	v_add_f64 v[156:157], v[156:157], v[158:159]
	v_mul_f64 v[158:159], v[104:105], s[44:45]
	v_fma_f64 v[160:161], v[56:57], s[0:1], v[160:161]
	v_mul_f64 v[104:105], v[104:105], s[40:41]
	v_add_f64 v[114:115], v[130:131], v[114:115]
	v_add_f64 v[118:119], v[124:125], v[118:119]
	;; [unrolled: 1-line block ×4, first 2 shown]
	v_mul_f64 v[136:137], v[80:81], s[40:41]
	v_add_f64 v[124:125], v[140:141], v[138:139]
	v_fma_f64 v[130:131], v[50:51], s[18:19], v[142:143]
	v_fma_f64 v[142:143], v[50:51], s[18:19], -v[142:143]
	v_add_f64 v[138:139], v[152:153], v[148:149]
	v_mul_f64 v[148:149], v[82:83], s[28:29]
	v_fma_f64 v[140:141], v[52:53], s[30:31], -v[146:147]
	v_add_f64 v[112:113], v[144:145], v[112:113]
	v_fma_f64 v[144:145], v[98:99], s[18:19], v[158:159]
	v_add_f64 v[152:153], v[160:161], v[156:157]
	v_fma_f64 v[146:147], v[52:53], s[30:31], v[146:147]
	v_fma_f64 v[156:157], v[100:101], s[18:19], -v[38:39]
	v_fma_f64 v[158:159], v[98:99], s[18:19], -v[158:159]
	v_fma_f64 v[38:39], v[100:101], s[18:19], v[38:39]
	v_fma_f64 v[160:161], v[98:99], s[6:7], v[104:105]
	v_fma_f64 v[98:99], v[98:99], s[6:7], -v[104:105]
	v_fma_f64 v[104:105], v[100:101], s[6:7], -v[102:103]
	v_fma_f64 v[100:101], v[100:101], s[6:7], v[102:103]
	v_mul_f64 v[102:103], v[92:93], s[38:39]
	v_mul_f64 v[92:93], v[92:93], s[44:45]
	v_fma_f64 v[116:117], v[46:47], s[6:7], v[136:137]
	v_fma_f64 v[136:137], v[46:47], s[6:7], -v[136:137]
	v_add_f64 v[128:129], v[128:129], v[132:133]
	v_add_f64 v[124:125], v[130:131], v[124:125]
	v_mul_f64 v[132:133], v[62:63], s[24:25]
	v_add_f64 v[130:131], v[140:141], v[138:139]
	v_fma_f64 v[140:141], v[66:67], s[36:37], v[150:151]
	v_add_f64 v[138:139], v[2:3], v[144:145]
	v_mul_f64 v[144:145], v[94:95], s[24:25]
	v_add_f64 v[112:113], v[142:143], v[112:113]
	v_fma_f64 v[142:143], v[48:49], s[18:19], -v[148:149]
	v_add_f64 v[146:147], v[146:147], v[152:153]
	v_add_f64 v[152:153], v[0:1], v[156:157]
	v_fma_f64 v[150:151], v[66:67], s[36:37], -v[150:151]
	v_add_f64 v[156:157], v[2:3], v[158:159]
	v_add_f64 v[38:39], v[0:1], v[38:39]
	;; [unrolled: 1-line block ×3, first 2 shown]
	v_fma_f64 v[158:159], v[60:61], s[36:37], v[102:103]
	v_add_f64 v[104:105], v[0:1], v[104:105]
	v_add_f64 v[2:3], v[2:3], v[98:99]
	;; [unrolled: 1-line block ×3, first 2 shown]
	v_mul_f64 v[98:99], v[88:89], s[24:25]
	v_fma_f64 v[100:101], v[66:67], s[18:19], -v[96:97]
	v_mul_f64 v[94:95], v[94:95], s[52:53]
	v_add_f64 v[116:117], v[116:117], v[124:125]
	v_fma_f64 v[124:125], v[60:61], s[18:19], v[92:93]
	v_mul_f64 v[88:89], v[88:89], s[52:53]
	v_fma_f64 v[102:103], v[60:61], s[36:37], -v[102:103]
	v_fma_f64 v[66:67], v[66:67], s[18:19], v[96:97]
	v_fma_f64 v[60:61], v[60:61], s[18:19], -v[92:93]
	v_fma_f64 v[148:149], v[48:49], s[18:19], v[148:149]
	v_add_f64 v[138:139], v[140:141], v[138:139]
	v_fma_f64 v[140:141], v[64:65], s[20:21], v[144:145]
	v_add_f64 v[130:131], v[142:143], v[130:131]
	v_mul_f64 v[142:143], v[90:91], s[4:5]
	v_fma_f64 v[144:145], v[64:65], s[20:21], -v[144:145]
	v_add_f64 v[150:151], v[150:151], v[156:157]
	v_mul_f64 v[156:157], v[84:85], s[4:5]
	v_mul_f64 v[90:91], v[90:91], s[38:39]
	v_add_f64 v[38:39], v[158:159], v[38:39]
	v_mul_f64 v[84:85], v[84:85], s[38:39]
	v_add_f64 v[112:113], v[136:137], v[112:113]
	v_mul_f64 v[96:97], v[58:59], s[24:25]
	v_fma_f64 v[158:159], v[56:57], s[20:21], v[98:99]
	v_add_f64 v[100:101], v[100:101], v[2:3]
	v_fma_f64 v[162:163], v[64:65], s[22:23], -v[94:95]
	v_add_f64 v[2:3], v[28:29], v[120:121]
	v_add_f64 v[0:1], v[124:125], v[0:1]
	v_fma_f64 v[92:93], v[56:57], s[22:23], v[88:89]
	v_add_f64 v[28:29], v[102:103], v[152:153]
	v_fma_f64 v[98:99], v[56:57], s[20:21], -v[98:99]
	v_fma_f64 v[64:65], v[64:65], s[22:23], v[94:95]
	v_add_f64 v[66:67], v[66:67], v[160:161]
	v_fma_f64 v[56:57], v[56:57], s[22:23], -v[88:89]
	v_add_f64 v[60:61], v[60:61], v[104:105]
	v_add_f64 v[136:137], v[148:149], v[146:147]
	;; [unrolled: 1-line block ×3, first 2 shown]
	v_fma_f64 v[120:121], v[54:55], s[0:1], v[142:143]
	v_add_f64 v[124:125], v[144:145], v[150:151]
	v_mul_f64 v[140:141], v[86:87], s[46:47]
	v_fma_f64 v[142:143], v[54:55], s[0:1], -v[142:143]
	v_fma_f64 v[144:145], v[52:53], s[0:1], v[156:157]
	v_mul_f64 v[146:147], v[82:83], s[46:47]
	v_fma_f64 v[94:95], v[54:55], s[36:37], -v[90:91]
	v_mul_f64 v[86:87], v[86:87], s[34:35]
	v_add_f64 v[38:39], v[158:159], v[38:39]
	v_mul_f64 v[82:83], v[82:83], s[34:35]
	v_add_f64 v[100:101], v[162:163], v[100:101]
	v_fma_f64 v[150:151], v[52:53], s[0:1], -v[156:157]
	v_fma_f64 v[54:55], v[54:55], s[36:37], v[90:91]
	v_add_f64 v[0:1], v[92:93], v[0:1]
	v_fma_f64 v[92:93], v[52:53], s[36:37], v[84:85]
	v_add_f64 v[28:29], v[98:99], v[28:29]
	v_fma_f64 v[52:53], v[52:53], s[36:37], -v[84:85]
	v_add_f64 v[64:65], v[64:65], v[66:67]
	v_mul_f64 v[98:99], v[78:79], s[40:41]
	v_add_f64 v[56:57], v[56:57], v[60:61]
	v_mul_f64 v[90:91], v[78:79], s[42:43]
	v_mul_f64 v[78:79], v[78:79], s[24:25]
	v_add_f64 v[120:121], v[120:121], v[138:139]
	v_mul_f64 v[66:67], v[76:77], s[38:39]
	v_mul_f64 v[88:89], v[62:63], s[28:29]
	v_add_f64 v[124:125], v[142:143], v[124:125]
	v_fma_f64 v[142:143], v[50:51], s[14:15], -v[140:141]
	v_fma_f64 v[138:139], v[48:49], s[14:15], v[146:147]
	v_fma_f64 v[140:141], v[50:51], s[14:15], v[140:141]
	v_fma_f64 v[146:147], v[48:49], s[14:15], -v[146:147]
	v_add_f64 v[38:39], v[144:145], v[38:39]
	v_mul_f64 v[144:145], v[80:81], s[42:43]
	v_add_f64 v[94:95], v[94:95], v[100:101]
	v_fma_f64 v[100:101], v[50:51], s[30:31], -v[86:87]
	v_mul_f64 v[80:81], v[80:81], s[24:25]
	v_fma_f64 v[50:51], v[50:51], s[30:31], v[86:87]
	v_add_f64 v[0:1], v[92:93], v[0:1]
	v_fma_f64 v[92:93], v[48:49], s[30:31], v[82:83]
	v_add_f64 v[28:29], v[150:151], v[28:29]
	v_add_f64 v[54:55], v[54:55], v[64:65]
	v_fma_f64 v[48:49], v[48:49], s[30:31], -v[82:83]
	v_add_f64 v[52:53], v[52:53], v[56:57]
	v_fma_f64 v[150:151], v[44:45], s[6:7], v[98:99]
	v_mul_f64 v[82:83], v[74:75], s[26:27]
	v_fma_f64 v[86:87], v[44:45], s[30:31], v[90:91]
	v_fma_f64 v[98:99], v[44:45], s[6:7], -v[98:99]
	v_fma_f64 v[64:65], v[42:43], s[36:37], v[66:67]
	v_fma_f64 v[66:67], v[42:43], s[36:37], -v[66:67]
	v_add_f64 v[124:125], v[142:143], v[124:125]
	v_mul_f64 v[142:143], v[74:75], s[38:39]
	v_mul_f64 v[74:75], v[74:75], s[16:17]
	v_add_f64 v[120:121], v[140:141], v[120:121]
	v_add_f64 v[38:39], v[138:139], v[38:39]
	v_mul_f64 v[138:139], v[76:77], s[26:27]
	v_mul_f64 v[76:77], v[76:77], s[16:17]
	v_add_f64 v[94:95], v[100:101], v[94:95]
	v_fma_f64 v[56:57], v[46:47], s[20:21], -v[80:81]
	v_fma_f64 v[100:101], v[46:47], s[30:31], -v[144:145]
	v_fma_f64 v[144:145], v[46:47], s[30:31], v[144:145]
	v_add_f64 v[0:1], v[92:93], v[0:1]
	v_fma_f64 v[92:93], v[44:45], s[20:21], v[78:79]
	v_add_f64 v[28:29], v[146:147], v[28:29]
	v_fma_f64 v[90:91], v[44:45], s[30:31], -v[90:91]
	v_fma_f64 v[46:47], v[46:47], s[20:21], v[80:81]
	v_add_f64 v[50:51], v[50:51], v[54:55]
	v_fma_f64 v[44:45], v[44:45], s[20:21], -v[78:79]
	v_add_f64 v[48:49], v[48:49], v[52:53]
	v_add_f64 v[136:137], v[150:151], v[136:137]
	v_mul_f64 v[150:151], v[62:63], s[16:17]
	v_mul_f64 v[146:147], v[62:63], s[8:9]
	;; [unrolled: 1-line block ×4, first 2 shown]
	v_fma_f64 v[78:79], v[40:41], s[14:15], v[74:75]
	v_fma_f64 v[52:53], v[40:41], s[22:23], v[82:83]
	v_add_f64 v[38:39], v[86:87], v[38:39]
	v_mul_f64 v[86:87], v[58:59], s[8:9]
	v_mul_f64 v[104:105], v[58:59], s[28:29]
	v_fma_f64 v[140:141], v[40:41], s[36:37], v[142:143]
	v_add_f64 v[54:55], v[56:57], v[94:95]
	v_fma_f64 v[56:57], v[42:43], s[14:15], -v[76:77]
	v_add_f64 v[100:101], v[100:101], v[124:125]
	v_fma_f64 v[124:125], v[42:43], s[22:23], -v[138:139]
	v_add_f64 v[0:1], v[92:93], v[0:1]
	v_mul_f64 v[58:59], v[58:59], s[16:17]
	v_add_f64 v[92:93], v[98:99], v[130:131]
	v_fma_f64 v[94:95], v[40:41], s[36:37], -v[142:143]
	v_add_f64 v[66:67], v[66:67], v[112:113]
	v_add_f64 v[98:99], v[144:145], v[120:121]
	v_fma_f64 v[112:113], v[42:43], s[22:23], v[138:139]
	v_add_f64 v[28:29], v[90:91], v[28:29]
	v_fma_f64 v[82:83], v[40:41], s[22:23], -v[82:83]
	v_fma_f64 v[42:43], v[42:43], s[14:15], v[76:77]
	v_add_f64 v[46:47], v[46:47], v[50:51]
	v_fma_f64 v[40:41], v[40:41], s[14:15], -v[74:75]
	v_add_f64 v[44:45], v[44:45], v[48:49]
	v_fma_f64 v[74:75], v[34:35], s[0:1], -v[62:63]
	v_fma_f64 v[76:77], v[32:33], s[0:1], v[80:81]
	v_add_f64 v[50:51], v[52:53], v[38:39]
	v_fma_f64 v[52:53], v[34:35], s[6:7], -v[146:147]
	v_add_f64 v[90:91], v[140:141], v[136:137]
	v_fma_f64 v[120:121], v[34:35], s[14:15], -v[150:151]
	v_add_f64 v[54:55], v[56:57], v[54:55]
	v_fma_f64 v[84:85], v[34:35], s[18:19], v[88:89]
	v_add_f64 v[48:49], v[124:125], v[100:101]
	v_add_f64 v[56:57], v[78:79], v[0:1]
	v_fma_f64 v[78:79], v[32:33], s[6:7], v[86:87]
	v_fma_f64 v[100:101], v[32:33], s[14:15], v[58:59]
	v_fma_f64 v[60:61], v[32:33], s[18:19], -v[104:105]
	v_fma_f64 v[88:89], v[34:35], s[18:19], -v[88:89]
	v_fma_f64 v[104:105], v[32:33], s[18:19], v[104:105]
	v_fma_f64 v[102:103], v[34:35], s[20:21], v[132:133]
	v_fma_f64 v[148:149], v[32:33], s[20:21], -v[96:97]
	v_fma_f64 v[132:133], v[34:35], s[20:21], -v[132:133]
	v_fma_f64 v[96:97], v[32:33], s[20:21], v[96:97]
	v_add_f64 v[64:65], v[64:65], v[116:117]
	v_add_f64 v[92:93], v[94:95], v[92:93]
	v_fma_f64 v[94:95], v[34:35], s[14:15], v[150:151]
	v_fma_f64 v[116:117], v[32:33], s[14:15], -v[58:59]
	v_add_f64 v[98:99], v[112:113], v[98:99]
	v_add_f64 v[82:83], v[82:83], v[28:29]
	v_fma_f64 v[112:113], v[34:35], s[6:7], v[146:147]
	v_fma_f64 v[86:87], v[32:33], s[6:7], -v[86:87]
	v_fma_f64 v[124:125], v[34:35], s[0:1], v[62:63]
	v_add_f64 v[130:131], v[42:43], v[46:47]
	v_fma_f64 v[80:81], v[32:33], s[0:1], -v[80:81]
	v_add_f64 v[136:137], v[40:41], v[44:45]
	v_add_f64 v[46:47], v[74:75], v[54:55]
	;; [unrolled: 1-line block ×14, first 2 shown]
	v_mul_u32_u24_e32 v74, 0x110, v70
	v_add_f64 v[54:55], v[84:85], v[114:115]
	v_add_f64 v[52:53], v[60:61], v[118:119]
	;; [unrolled: 1-line block ×8, first 2 shown]
	v_add3_u32 v74, 0, v74, v106
	ds_write_b128 v74, v[4:7]
	ds_write_b128 v74, v[44:47] offset:16
	ds_write_b128 v74, v[40:43] offset:32
	;; [unrolled: 1-line block ×16, first 2 shown]
.LBB0_20:
	s_or_b32 exec_lo, exec_lo, s33
	v_add_nc_u32_e32 v2, 34, v70
	v_mul_u32_u24_e32 v1, 3, v70
	v_mov_b32_e32 v11, 3
	s_waitcnt lgkmcnt(0)
	s_barrier
	v_and_b32_e32 v0, 0xff, v2
	v_lshlrev_b32_e32 v1, 4, v1
	buffer_gl0_inv
	s_mov_b32 s5, 0x3febb67a
	s_clause 0x1
	global_load_dwordx4 v[3:6], v1, s[12:13]
	global_load_dwordx4 v[7:10], v1, s[12:13] offset:16
	v_mul_lo_u16 v0, 0xf1, v0
	v_lshrrev_b16 v0, 12, v0
	v_mul_lo_u16 v0, v0, 17
	v_sub_nc_u16 v67, v2, v0
	v_mul_u32_u24_sdwa v0, v67, v11 dst_sel:DWORD dst_unused:UNUSED_PAD src0_sel:BYTE_0 src1_sel:DWORD
	global_load_dwordx4 v[11:14], v1, s[12:13] offset:32
	v_lshlrev_b32_e32 v0, 4, v0
	s_clause 0x2
	global_load_dwordx4 v[15:18], v0, s[12:13]
	global_load_dwordx4 v[19:22], v0, s[12:13] offset:16
	global_load_dwordx4 v[23:26], v0, s[12:13] offset:32
	ds_read_b128 v[27:30], v71 offset:816
	ds_read_b128 v[31:34], v71 offset:1632
	;; [unrolled: 1-line block ×10, first 2 shown]
	ds_read_b128 v[74:77], v108
	ds_read_b128 v[78:81], v71 offset:272
	s_waitcnt vmcnt(0) lgkmcnt(0)
	s_barrier
	buffer_gl0_inv
	v_mul_f64 v[0:1], v[29:30], v[5:6]
	v_mul_f64 v[82:83], v[27:28], v[5:6]
	;; [unrolled: 1-line block ×8, first 2 shown]
	v_fma_f64 v[0:1], v[27:28], v[3:4], v[0:1]
	v_mul_f64 v[88:89], v[37:38], v[13:14]
	v_mul_f64 v[90:91], v[35:36], v[13:14]
	;; [unrolled: 1-line block ×4, first 2 shown]
	v_fma_f64 v[27:28], v[29:30], v[3:4], -v[82:83]
	v_fma_f64 v[29:30], v[31:32], v[7:8], v[84:85]
	v_fma_f64 v[31:32], v[33:34], v[7:8], -v[86:87]
	v_mul_f64 v[98:99], v[53:54], v[17:18]
	v_mul_f64 v[17:18], v[51:52], v[17:18]
	;; [unrolled: 1-line block ×6, first 2 shown]
	v_fma_f64 v[33:34], v[35:36], v[11:12], v[88:89]
	v_fma_f64 v[35:36], v[37:38], v[11:12], -v[90:91]
	v_fma_f64 v[37:38], v[39:40], v[3:4], v[92:93]
	v_fma_f64 v[3:4], v[41:42], v[3:4], -v[5:6]
	;; [unrolled: 2-line block ×7, first 2 shown]
	v_add_f64 v[29:30], v[74:75], -v[29:30]
	v_add_f64 v[31:32], v[76:77], -v[31:32]
	;; [unrolled: 1-line block ×12, first 2 shown]
	v_fma_f64 v[41:42], v[74:75], 2.0, -v[29:30]
	v_fma_f64 v[47:48], v[76:77], 2.0, -v[31:32]
	v_fma_f64 v[11:12], v[0:1], 2.0, -v[25:26]
	v_fma_f64 v[17:18], v[27:28], 2.0, -v[33:34]
	v_add_f64 v[5:6], v[31:32], -v[25:26]
	v_lshlrev_b32_e32 v0, 1, v70
	v_fma_f64 v[49:50], v[78:79], 2.0, -v[35:36]
	v_fma_f64 v[51:52], v[80:81], 2.0, -v[39:40]
	;; [unrolled: 1-line block ×4, first 2 shown]
	v_add_f64 v[3:4], v[29:30], v[33:34]
	v_add_f64 v[7:8], v[35:36], v[7:8]
	v_fma_f64 v[53:54], v[63:64], 2.0, -v[43:44]
	v_fma_f64 v[55:56], v[65:66], 2.0, -v[45:46]
	;; [unrolled: 1-line block ×4, first 2 shown]
	v_add_f64 v[9:10], v[39:40], -v[9:10]
	v_add_f64 v[19:20], v[43:44], v[19:20]
	v_add_f64 v[21:22], v[45:46], -v[21:22]
	v_mov_b32_e32 v1, 0
	v_lshlrev_b32_e32 v33, 1, v2
	v_mov_b32_e32 v2, 4
	v_add_f64 v[11:12], v[41:42], -v[11:12]
	v_add_f64 v[13:14], v[47:48], -v[17:18]
	v_mov_b32_e32 v34, v1
	v_lshlrev_b64 v[59:60], 4, v[0:1]
	v_add_f64 v[15:16], v[49:50], -v[23:24]
	v_add_f64 v[17:18], v[51:52], -v[27:28]
	v_add_nc_u32_e32 v27, 34, v0
	v_mov_b32_e32 v28, v1
	v_lshlrev_b64 v[61:62], 4, v[33:34]
	v_add_nc_u32_e32 v0, 0x66, v0
	v_add_f64 v[23:24], v[53:54], -v[37:38]
	v_add_f64 v[25:26], v[55:56], -v[57:58]
	v_lshlrev_b64 v[57:58], 4, v[27:28]
	v_fma_f64 v[27:28], v[29:30], 2.0, -v[3:4]
	v_fma_f64 v[29:30], v[31:32], 2.0, -v[5:6]
	;; [unrolled: 1-line block ×6, first 2 shown]
	v_lshlrev_b64 v[63:64], 4, v[0:1]
	v_fma_f64 v[35:36], v[41:42], 2.0, -v[11:12]
	v_fma_f64 v[37:38], v[47:48], 2.0, -v[13:14]
	v_lshlrev_b32_sdwa v0, v2, v67 dst_sel:DWORD dst_unused:UNUSED_PAD src0_sel:DWORD src1_sel:BYTE_0
	v_fma_f64 v[39:40], v[49:50], 2.0, -v[15:16]
	v_fma_f64 v[41:42], v[51:52], 2.0, -v[17:18]
	v_add_co_u32 v51, s0, s12, v59
	v_add_co_ci_u32_e64 v52, s0, s13, v60, s0
	v_fma_f64 v[47:48], v[53:54], 2.0, -v[23:24]
	v_fma_f64 v[49:50], v[55:56], 2.0, -v[25:26]
	v_add_co_u32 v53, s0, s12, v57
	v_add_co_ci_u32_e64 v54, s0, s13, v58, s0
	v_add3_u32 v0, 0, v0, v106
	ds_write_b128 v71, v[3:6] offset:816
	ds_write_b128 v71, v[7:10] offset:1904
	;; [unrolled: 1-line block ×6, first 2 shown]
	ds_write_b128 v71, v[35:38]
	ds_write_b128 v71, v[39:42] offset:1088
	ds_write_b128 v0, v[19:22] offset:2992
	;; [unrolled: 1-line block ×5, first 2 shown]
	v_add_co_u32 v22, s0, s12, v61
	s_waitcnt lgkmcnt(0)
	s_barrier
	buffer_gl0_inv
	s_clause 0x1
	global_load_dwordx4 v[2:5], v[51:52], off offset:832
	global_load_dwordx4 v[6:9], v[51:52], off offset:816
	v_add_co_ci_u32_e64 v23, s0, s13, v62, s0
	v_add_co_u32 v30, s0, s12, v63
	s_clause 0x1
	global_load_dwordx4 v[10:13], v[53:54], off offset:832
	global_load_dwordx4 v[14:17], v[53:54], off offset:816
	v_add_co_ci_u32_e64 v31, s0, s13, v64, s0
	s_clause 0x3
	global_load_dwordx4 v[18:21], v[22:23], off offset:816
	global_load_dwordx4 v[22:25], v[22:23], off offset:832
	;; [unrolled: 1-line block ×4, first 2 shown]
	ds_read_b128 v[34:37], v71 offset:1088
	ds_read_b128 v[38:41], v71 offset:2176
	;; [unrolled: 1-line block ×8, first 2 shown]
	s_mov_b32 s0, 0xe8584caa
	s_mov_b32 s1, 0xbfebb67a
	;; [unrolled: 1-line block ×3, first 2 shown]
	v_add_nc_u32_e32 v0, v109, v106
	s_waitcnt vmcnt(7) lgkmcnt(6)
	v_mul_f64 v[74:75], v[40:41], v[4:5]
	s_waitcnt vmcnt(6)
	v_mul_f64 v[66:67], v[36:37], v[8:9]
	v_mul_f64 v[8:9], v[34:35], v[8:9]
	;; [unrolled: 1-line block ×3, first 2 shown]
	s_waitcnt vmcnt(5) lgkmcnt(4)
	v_mul_f64 v[78:79], v[48:49], v[12:13]
	s_waitcnt vmcnt(4)
	v_mul_f64 v[76:77], v[44:45], v[16:17]
	v_mul_f64 v[16:17], v[42:43], v[16:17]
	;; [unrolled: 1-line block ×3, first 2 shown]
	s_waitcnt vmcnt(3) lgkmcnt(3)
	v_mul_f64 v[80:81], v[52:53], v[20:21]
	v_mul_f64 v[20:21], v[50:51], v[20:21]
	s_waitcnt vmcnt(2) lgkmcnt(2)
	v_mul_f64 v[82:83], v[56:57], v[24:25]
	v_mul_f64 v[24:25], v[54:55], v[24:25]
	s_waitcnt vmcnt(1) lgkmcnt(1)
	v_mul_f64 v[84:85], v[60:61], v[28:29]
	s_waitcnt vmcnt(0) lgkmcnt(0)
	v_mul_f64 v[86:87], v[64:65], v[32:33]
	v_mul_f64 v[28:29], v[58:59], v[28:29]
	;; [unrolled: 1-line block ×3, first 2 shown]
	v_fma_f64 v[38:39], v[38:39], v[2:3], v[74:75]
	v_fma_f64 v[34:35], v[34:35], v[6:7], v[66:67]
	v_fma_f64 v[36:37], v[36:37], v[6:7], -v[8:9]
	v_fma_f64 v[40:41], v[40:41], v[2:3], -v[4:5]
	ds_read_b128 v[2:5], v108
	v_fma_f64 v[46:47], v[46:47], v[10:11], v[78:79]
	v_fma_f64 v[42:43], v[42:43], v[14:15], v[76:77]
	v_fma_f64 v[44:45], v[44:45], v[14:15], -v[16:17]
	v_fma_f64 v[48:49], v[48:49], v[10:11], -v[12:13]
	v_fma_f64 v[50:51], v[50:51], v[18:19], v[80:81]
	v_fma_f64 v[18:19], v[52:53], v[18:19], -v[20:21]
	v_fma_f64 v[20:21], v[54:55], v[22:23], v[82:83]
	;; [unrolled: 2-line block ×3, first 2 shown]
	v_fma_f64 v[52:53], v[62:63], v[30:31], v[86:87]
	v_fma_f64 v[26:27], v[60:61], v[26:27], -v[28:29]
	v_fma_f64 v[28:29], v[64:65], v[30:31], -v[32:33]
	ds_read_b128 v[6:9], v71 offset:272
	ds_read_b128 v[10:13], v71 offset:544
	;; [unrolled: 1-line block ×3, first 2 shown]
	s_waitcnt lgkmcnt(0)
	s_barrier
	buffer_gl0_inv
	v_add_f64 v[30:31], v[34:35], v[38:39]
	v_add_f64 v[60:61], v[2:3], v[34:35]
	;; [unrolled: 1-line block ×3, first 2 shown]
	v_add_f64 v[64:65], v[36:37], -v[40:41]
	v_add_f64 v[36:37], v[4:5], v[36:37]
	v_add_f64 v[54:55], v[42:43], v[46:47]
	v_add_f64 v[34:35], v[34:35], -v[38:39]
	v_add_f64 v[56:57], v[44:45], v[48:49]
	v_add_f64 v[58:59], v[50:51], v[20:21]
	;; [unrolled: 1-line block ×11, first 2 shown]
	v_add_f64 v[44:45], v[44:45], -v[48:49]
	v_add_f64 v[42:43], v[42:43], -v[46:47]
	v_fma_f64 v[30:31], v[30:31], -0.5, v[2:3]
	v_add_f64 v[88:89], v[18:19], -v[22:23]
	v_fma_f64 v[32:33], v[32:33], -0.5, v[4:5]
	v_add_f64 v[50:51], v[50:51], -v[20:21]
	v_add_f64 v[90:91], v[26:27], -v[28:29]
	v_fma_f64 v[54:55], v[54:55], -0.5, v[6:7]
	v_add_f64 v[92:93], v[24:25], -v[52:53]
	v_fma_f64 v[56:57], v[56:57], -0.5, v[8:9]
	v_add_f64 v[2:3], v[60:61], v[38:39]
	v_add_f64 v[4:5], v[36:37], v[40:41]
	v_fma_f64 v[58:59], v[58:59], -0.5, v[10:11]
	v_fma_f64 v[62:63], v[62:63], -0.5, v[12:13]
	v_add_f64 v[6:7], v[76:77], v[46:47]
	v_fma_f64 v[66:67], v[66:67], -0.5, v[14:15]
	v_add_f64 v[8:9], v[78:79], v[48:49]
	;; [unrolled: 2-line block ×3, first 2 shown]
	v_add_f64 v[12:13], v[82:83], v[22:23]
	v_add_f64 v[14:15], v[84:85], v[52:53]
	;; [unrolled: 1-line block ×3, first 2 shown]
	v_fma_f64 v[18:19], v[64:65], s[0:1], v[30:31]
	v_fma_f64 v[22:23], v[64:65], s[4:5], v[30:31]
	;; [unrolled: 1-line block ×16, first 2 shown]
	ds_write_b128 v71, v[2:5]
	ds_write_b128 v71, v[6:9] offset:272
	ds_write_b128 v71, v[10:13] offset:544
	;; [unrolled: 1-line block ×11, first 2 shown]
	s_waitcnt lgkmcnt(0)
	s_barrier
	buffer_gl0_inv
	s_and_saveexec_b32 s0, vcc_lo
	s_cbranch_execz .LBB0_22
; %bb.21:
	v_mul_lo_u32 v0, s3, v72
	v_mul_lo_u32 v4, s2, v73
	v_mad_u64_u32 v[2:3], null, s2, v72, 0
	v_lshl_add_u32 v28, v70, 4, v107
	v_mov_b32_e32 v71, v1
	v_lshlrev_b64 v[10:11], 4, v[68:69]
	v_lshlrev_b64 v[14:15], 4, v[70:71]
	v_add3_u32 v3, v3, v4, v0
	v_add_nc_u32_e32 v0, 17, v70
	v_lshlrev_b64 v[12:13], 4, v[2:3]
	ds_read_b128 v[2:5], v28
	ds_read_b128 v[6:9], v28 offset:272
	v_lshlrev_b64 v[18:19], 4, v[0:1]
	v_add_nc_u32_e32 v0, 34, v70
	v_add_co_u32 v12, vcc_lo, s10, v12
	v_add_co_ci_u32_e32 v13, vcc_lo, s11, v13, vcc_lo
	v_lshlrev_b64 v[22:23], 4, v[0:1]
	v_add_co_u32 v30, vcc_lo, v12, v10
	v_add_co_ci_u32_e32 v31, vcc_lo, v13, v11, vcc_lo
	v_add_nc_u32_e32 v0, 51, v70
	v_add_co_u32 v20, vcc_lo, v30, v14
	v_add_co_ci_u32_e32 v21, vcc_lo, v31, v15, vcc_lo
	ds_read_b128 v[10:13], v28 offset:544
	ds_read_b128 v[14:17], v28 offset:816
	s_waitcnt lgkmcnt(3)
	global_store_dwordx4 v[20:21], v[2:5], off
	v_add_co_u32 v2, vcc_lo, v30, v18
	v_lshlrev_b64 v[4:5], 4, v[0:1]
	v_add_co_ci_u32_e32 v3, vcc_lo, v31, v19, vcc_lo
	v_add_co_u32 v18, vcc_lo, v30, v22
	v_add_co_ci_u32_e32 v19, vcc_lo, v31, v23, vcc_lo
	v_add_co_u32 v4, vcc_lo, v30, v4
	v_add_nc_u32_e32 v0, 0x44, v70
	v_add_co_ci_u32_e32 v5, vcc_lo, v31, v5, vcc_lo
	s_waitcnt lgkmcnt(2)
	global_store_dwordx4 v[2:3], v[6:9], off
	s_waitcnt lgkmcnt(1)
	global_store_dwordx4 v[18:19], v[10:13], off
	;; [unrolled: 2-line block ×3, first 2 shown]
	v_lshlrev_b64 v[20:21], 4, v[0:1]
	v_add_nc_u32_e32 v0, 0x55, v70
	ds_read_b128 v[2:5], v28 offset:1088
	ds_read_b128 v[6:9], v28 offset:1360
	;; [unrolled: 1-line block ×3, first 2 shown]
	v_lshlrev_b64 v[14:15], 4, v[0:1]
	v_add_nc_u32_e32 v0, 0x66, v70
	v_add_co_u32 v16, vcc_lo, v30, v20
	v_add_co_ci_u32_e32 v17, vcc_lo, v31, v21, vcc_lo
	v_lshlrev_b64 v[18:19], 4, v[0:1]
	v_add_nc_u32_e32 v0, 0x77, v70
	v_add_co_u32 v14, vcc_lo, v30, v14
	v_add_co_ci_u32_e32 v15, vcc_lo, v31, v15, vcc_lo
	v_lshlrev_b64 v[20:21], 4, v[0:1]
	v_add_nc_u32_e32 v0, 0x88, v70
	v_add_co_u32 v18, vcc_lo, v30, v18
	s_waitcnt lgkmcnt(2)
	global_store_dwordx4 v[16:17], v[2:5], off
	s_waitcnt lgkmcnt(1)
	global_store_dwordx4 v[14:15], v[6:9], off
	v_add_co_ci_u32_e32 v19, vcc_lo, v31, v19, vcc_lo
	v_lshlrev_b64 v[6:7], 4, v[0:1]
	v_add_co_u32 v22, vcc_lo, v30, v20
	v_add_nc_u32_e32 v0, 0x99, v70
	v_add_co_ci_u32_e32 v23, vcc_lo, v31, v21, vcc_lo
	v_add_co_u32 v24, vcc_lo, v30, v6
	s_waitcnt lgkmcnt(0)
	global_store_dwordx4 v[18:19], v[10:13], off
	ds_read_b128 v[2:5], v28 offset:1904
	v_add_co_ci_u32_e32 v25, vcc_lo, v31, v7, vcc_lo
	ds_read_b128 v[6:9], v28 offset:2176
	ds_read_b128 v[10:13], v28 offset:2448
	;; [unrolled: 1-line block ×4, first 2 shown]
	v_lshlrev_b64 v[26:27], 4, v[0:1]
	v_add_nc_u32_e32 v0, 0xaa, v70
	v_lshlrev_b64 v[28:29], 4, v[0:1]
	v_add_nc_u32_e32 v0, 0xbb, v70
	v_add_co_u32 v26, vcc_lo, v30, v26
	v_add_co_ci_u32_e32 v27, vcc_lo, v31, v27, vcc_lo
	v_lshlrev_b64 v[0:1], 4, v[0:1]
	v_add_co_u32 v28, vcc_lo, v30, v28
	v_add_co_ci_u32_e32 v29, vcc_lo, v31, v29, vcc_lo
	v_add_co_u32 v0, vcc_lo, v30, v0
	v_add_co_ci_u32_e32 v1, vcc_lo, v31, v1, vcc_lo
	s_waitcnt lgkmcnt(4)
	global_store_dwordx4 v[22:23], v[2:5], off
	s_waitcnt lgkmcnt(3)
	global_store_dwordx4 v[24:25], v[6:9], off
	;; [unrolled: 2-line block ×5, first 2 shown]
.LBB0_22:
	s_endpgm
	.section	.rodata,"a",@progbits
	.p2align	6, 0x0
	.amdhsa_kernel fft_rtc_back_len204_factors_17_4_3_wgs_119_tpt_17_halfLds_dp_op_CI_CI_unitstride_sbrr_C2R_dirReg
		.amdhsa_group_segment_fixed_size 0
		.amdhsa_private_segment_fixed_size 0
		.amdhsa_kernarg_size 104
		.amdhsa_user_sgpr_count 6
		.amdhsa_user_sgpr_private_segment_buffer 1
		.amdhsa_user_sgpr_dispatch_ptr 0
		.amdhsa_user_sgpr_queue_ptr 0
		.amdhsa_user_sgpr_kernarg_segment_ptr 1
		.amdhsa_user_sgpr_dispatch_id 0
		.amdhsa_user_sgpr_flat_scratch_init 0
		.amdhsa_user_sgpr_private_segment_size 0
		.amdhsa_wavefront_size32 1
		.amdhsa_uses_dynamic_stack 0
		.amdhsa_system_sgpr_private_segment_wavefront_offset 0
		.amdhsa_system_sgpr_workgroup_id_x 1
		.amdhsa_system_sgpr_workgroup_id_y 0
		.amdhsa_system_sgpr_workgroup_id_z 0
		.amdhsa_system_sgpr_workgroup_info 0
		.amdhsa_system_vgpr_workitem_id 0
		.amdhsa_next_free_vgpr 168
		.amdhsa_next_free_sgpr 54
		.amdhsa_reserve_vcc 1
		.amdhsa_reserve_flat_scratch 0
		.amdhsa_float_round_mode_32 0
		.amdhsa_float_round_mode_16_64 0
		.amdhsa_float_denorm_mode_32 3
		.amdhsa_float_denorm_mode_16_64 3
		.amdhsa_dx10_clamp 1
		.amdhsa_ieee_mode 1
		.amdhsa_fp16_overflow 0
		.amdhsa_workgroup_processor_mode 1
		.amdhsa_memory_ordered 1
		.amdhsa_forward_progress 0
		.amdhsa_shared_vgpr_count 0
		.amdhsa_exception_fp_ieee_invalid_op 0
		.amdhsa_exception_fp_denorm_src 0
		.amdhsa_exception_fp_ieee_div_zero 0
		.amdhsa_exception_fp_ieee_overflow 0
		.amdhsa_exception_fp_ieee_underflow 0
		.amdhsa_exception_fp_ieee_inexact 0
		.amdhsa_exception_int_div_zero 0
	.end_amdhsa_kernel
	.text
.Lfunc_end0:
	.size	fft_rtc_back_len204_factors_17_4_3_wgs_119_tpt_17_halfLds_dp_op_CI_CI_unitstride_sbrr_C2R_dirReg, .Lfunc_end0-fft_rtc_back_len204_factors_17_4_3_wgs_119_tpt_17_halfLds_dp_op_CI_CI_unitstride_sbrr_C2R_dirReg
                                        ; -- End function
	.section	.AMDGPU.csdata,"",@progbits
; Kernel info:
; codeLenInByte = 12068
; NumSgprs: 56
; NumVgprs: 168
; ScratchSize: 0
; MemoryBound: 0
; FloatMode: 240
; IeeeMode: 1
; LDSByteSize: 0 bytes/workgroup (compile time only)
; SGPRBlocks: 6
; VGPRBlocks: 20
; NumSGPRsForWavesPerEU: 56
; NumVGPRsForWavesPerEU: 168
; Occupancy: 5
; WaveLimiterHint : 1
; COMPUTE_PGM_RSRC2:SCRATCH_EN: 0
; COMPUTE_PGM_RSRC2:USER_SGPR: 6
; COMPUTE_PGM_RSRC2:TRAP_HANDLER: 0
; COMPUTE_PGM_RSRC2:TGID_X_EN: 1
; COMPUTE_PGM_RSRC2:TGID_Y_EN: 0
; COMPUTE_PGM_RSRC2:TGID_Z_EN: 0
; COMPUTE_PGM_RSRC2:TIDIG_COMP_CNT: 0
	.text
	.p2alignl 6, 3214868480
	.fill 48, 4, 3214868480
	.type	__hip_cuid_9f6f2333bf8295dd,@object ; @__hip_cuid_9f6f2333bf8295dd
	.section	.bss,"aw",@nobits
	.globl	__hip_cuid_9f6f2333bf8295dd
__hip_cuid_9f6f2333bf8295dd:
	.byte	0                               ; 0x0
	.size	__hip_cuid_9f6f2333bf8295dd, 1

	.ident	"AMD clang version 19.0.0git (https://github.com/RadeonOpenCompute/llvm-project roc-6.4.0 25133 c7fe45cf4b819c5991fe208aaa96edf142730f1d)"
	.section	".note.GNU-stack","",@progbits
	.addrsig
	.addrsig_sym __hip_cuid_9f6f2333bf8295dd
	.amdgpu_metadata
---
amdhsa.kernels:
  - .args:
      - .actual_access:  read_only
        .address_space:  global
        .offset:         0
        .size:           8
        .value_kind:     global_buffer
      - .offset:         8
        .size:           8
        .value_kind:     by_value
      - .actual_access:  read_only
        .address_space:  global
        .offset:         16
        .size:           8
        .value_kind:     global_buffer
      - .actual_access:  read_only
        .address_space:  global
        .offset:         24
        .size:           8
        .value_kind:     global_buffer
      - .actual_access:  read_only
        .address_space:  global
        .offset:         32
        .size:           8
        .value_kind:     global_buffer
      - .offset:         40
        .size:           8
        .value_kind:     by_value
      - .actual_access:  read_only
        .address_space:  global
        .offset:         48
        .size:           8
        .value_kind:     global_buffer
      - .actual_access:  read_only
        .address_space:  global
        .offset:         56
        .size:           8
        .value_kind:     global_buffer
      - .offset:         64
        .size:           4
        .value_kind:     by_value
      - .actual_access:  read_only
        .address_space:  global
        .offset:         72
        .size:           8
        .value_kind:     global_buffer
      - .actual_access:  read_only
        .address_space:  global
        .offset:         80
        .size:           8
        .value_kind:     global_buffer
      - .actual_access:  read_only
        .address_space:  global
        .offset:         88
        .size:           8
        .value_kind:     global_buffer
      - .actual_access:  write_only
        .address_space:  global
        .offset:         96
        .size:           8
        .value_kind:     global_buffer
    .group_segment_fixed_size: 0
    .kernarg_segment_align: 8
    .kernarg_segment_size: 104
    .language:       OpenCL C
    .language_version:
      - 2
      - 0
    .max_flat_workgroup_size: 119
    .name:           fft_rtc_back_len204_factors_17_4_3_wgs_119_tpt_17_halfLds_dp_op_CI_CI_unitstride_sbrr_C2R_dirReg
    .private_segment_fixed_size: 0
    .sgpr_count:     56
    .sgpr_spill_count: 0
    .symbol:         fft_rtc_back_len204_factors_17_4_3_wgs_119_tpt_17_halfLds_dp_op_CI_CI_unitstride_sbrr_C2R_dirReg.kd
    .uniform_work_group_size: 1
    .uses_dynamic_stack: false
    .vgpr_count:     168
    .vgpr_spill_count: 0
    .wavefront_size: 32
    .workgroup_processor_mode: 1
amdhsa.target:   amdgcn-amd-amdhsa--gfx1030
amdhsa.version:
  - 1
  - 2
...

	.end_amdgpu_metadata
